;; amdgpu-corpus repo=ROCm/rocFFT kind=compiled arch=gfx1030 opt=O3
	.text
	.amdgcn_target "amdgcn-amd-amdhsa--gfx1030"
	.amdhsa_code_object_version 6
	.protected	bluestein_single_fwd_len784_dim1_half_op_CI_CI ; -- Begin function bluestein_single_fwd_len784_dim1_half_op_CI_CI
	.globl	bluestein_single_fwd_len784_dim1_half_op_CI_CI
	.p2align	8
	.type	bluestein_single_fwd_len784_dim1_half_op_CI_CI,@function
bluestein_single_fwd_len784_dim1_half_op_CI_CI: ; @bluestein_single_fwd_len784_dim1_half_op_CI_CI
; %bb.0:
	s_load_dwordx4 s[16:19], s[4:5], 0x28
	v_mul_u32_u24_e32 v1, 0x493, v0
	v_mov_b32_e32 v17, 0
	s_mov_b32 s0, exec_lo
	v_lshrrev_b32_e32 v1, 16, v1
	v_add_nc_u32_e32 v16, s6, v1
	s_waitcnt lgkmcnt(0)
	v_cmpx_gt_u64_e64 s[16:17], v[16:17]
	s_cbranch_execz .LBB0_2
; %bb.1:
	s_clause 0x1
	s_load_dwordx4 s[0:3], s[4:5], 0x18
	s_load_dwordx4 s[8:11], s[4:5], 0x0
	v_mul_lo_u16 v1, v1, 56
	s_load_dwordx2 s[4:5], s[4:5], 0x38
	s_mov_b32 s46, 0xa72f0539
	s_mov_b32 s47, 0x3f54e5e0
	v_sub_nc_u16 v0, v0, v1
	v_and_b32_e32 v58, 0xffff, v0
	v_or_b32_e32 v57, 0x1c0, v58
	v_lshlrev_b32_e32 v54, 2, v58
	v_and_b32_e32 v23, 1, v58
	s_waitcnt lgkmcnt(0)
	s_load_dwordx4 s[12:15], s[0:1], 0x0
	v_lshlrev_b32_e32 v84, 3, v58
	v_add_nc_u32_e32 v56, 0x400, v54
	v_add_nc_u32_e32 v53, 0x800, v54
	;; [unrolled: 1-line block ×3, first 2 shown]
	v_lshlrev_b32_e32 v24, 2, v23
	s_waitcnt lgkmcnt(0)
	v_mad_u64_u32 v[0:1], null, s14, v16, 0
	v_mad_u64_u32 v[2:3], null, s12, v58, 0
	s_mul_i32 s1, s13, 0x620
	s_mul_hi_u32 s7, s12, 0x620
	s_mul_i32 s0, s12, 0x620
	s_add_i32 s1, s7, s1
	s_mul_i32 s14, s13, 0xfffffac0
	s_mul_i32 s6, s12, 0xfffffac0
	v_mad_u64_u32 v[4:5], null, s15, v16, v[1:2]
	s_mul_hi_u32 s15, s12, 0xfffffac0
	s_sub_i32 s7, s15, s12
	s_add_i32 s7, s7, s14
	v_mad_u64_u32 v[5:6], null, s13, v58, v[3:4]
	v_mov_b32_e32 v1, v4
	v_mad_u64_u32 v[6:7], null, s12, v57, 0
	v_lshlrev_b64 v[0:1], 2, v[0:1]
	v_mov_b32_e32 v3, v5
	v_add_co_u32 v12, vcc_lo, s18, v0
	v_lshlrev_b64 v[2:3], 2, v[2:3]
	v_add_co_ci_u32_e32 v13, vcc_lo, s19, v1, vcc_lo
	v_mov_b32_e32 v0, v7
	v_add_co_u32 v1, vcc_lo, v12, v2
	v_add_co_ci_u32_e32 v2, vcc_lo, v13, v3, vcc_lo
	v_mad_u64_u32 v[3:4], null, s13, v57, v[0:1]
	v_add_co_u32 v4, vcc_lo, v1, s0
	v_add_co_ci_u32_e32 v5, vcc_lo, s1, v2, vcc_lo
	v_add_co_u32 v8, vcc_lo, v4, s6
	v_add_co_ci_u32_e32 v9, vcc_lo, s7, v5, vcc_lo
	v_mov_b32_e32 v7, v3
	v_mad_u64_u32 v[10:11], null, 0xe0, s12, v[8:9]
	v_lshlrev_b64 v[6:7], 2, v[6:7]
	v_add_co_u32 v28, s12, s8, v54
	v_add_co_ci_u32_e64 v27, null, s9, 0, s12
	v_mov_b32_e32 v0, v11
	v_add_co_u32 v6, vcc_lo, v12, v6
	v_add_co_ci_u32_e32 v7, vcc_lo, v13, v7, vcc_lo
	v_mad_u64_u32 v[11:12], null, 0xe0, s13, v[0:1]
	s_clause 0x1
	global_load_dword v12, v[1:2], off
	global_load_dword v4, v[4:5], off
	global_load_dword v43, v54, s[8:9]
	global_load_dword v5, v[6:7], off
	s_clause 0x4
	global_load_dword v42, v54, s[8:9] offset:1792
	global_load_dword v41, v54, s[8:9] offset:1568
	global_load_dword v44, v54, s[8:9] offset:2016
	global_load_dword v46, v54, s[8:9] offset:224
	global_load_dword v45, v54, s[8:9] offset:448
	v_add_co_u32 v0, vcc_lo, v10, s0
	v_add_co_ci_u32_e32 v1, vcc_lo, s1, v11, vcc_lo
	s_clause 0x2
	global_load_dword v6, v[10:11], off
	global_load_dword v7, v[0:1], off
	;; [unrolled: 1-line block ×3, first 2 shown]
	v_add_co_u32 v0, vcc_lo, v0, s6
	v_add_co_ci_u32_e32 v1, vcc_lo, s7, v1, vcc_lo
	v_add_co_u32 v25, vcc_lo, 0x800, v28
	v_add_co_ci_u32_e32 v26, vcc_lo, 0, v27, vcc_lo
	;; [unrolled: 2-line block ×3, first 2 shown]
	global_load_dword v9, v[0:1], off
	s_clause 0x1
	global_load_dword v47, v54, s[8:9] offset:672
	global_load_dword v48, v[25:26], off offset:192
	global_load_dword v10, v[2:3], off
	v_add_co_u32 v0, vcc_lo, v2, s6
	v_add_co_ci_u32_e32 v1, vcc_lo, s7, v3, vcc_lo
	s_clause 0x1
	global_load_dword v49, v54, s[8:9] offset:896
	global_load_dword v50, v54, s[8:9] offset:1120
	v_add_co_u32 v2, vcc_lo, v0, s0
	v_add_co_ci_u32_e32 v3, vcc_lo, s1, v1, vcc_lo
	global_load_dword v11, v[0:1], off
	global_load_dword v51, v[25:26], off offset:416
	v_add_co_u32 v0, vcc_lo, v2, s6
	v_add_co_ci_u32_e32 v1, vcc_lo, s7, v3, vcc_lo
	global_load_dword v13, v[2:3], off
	v_add_co_u32 v2, vcc_lo, v0, s0
	v_add_co_ci_u32_e32 v3, vcc_lo, s1, v1, vcc_lo
	global_load_dword v14, v[0:1], off
	;; [unrolled: 3-line block ×3, first 2 shown]
	v_add_co_u32 v2, vcc_lo, v0, s0
	v_add_co_ci_u32_e32 v3, vcc_lo, s1, v1, vcc_lo
	global_load_dword v52, v[25:26], off offset:640
	global_load_dword v0, v[0:1], off
	global_load_dword v1, v[2:3], off
	s_clause 0x1
	global_load_dword v40, v54, s[8:9] offset:1344
	global_load_dword v39, v[25:26], off offset:864
	s_load_dwordx4 s[0:3], s[2:3], 0x0
	s_waitcnt lgkmcnt(0)
	s_mul_i32 s6, s1, 0x620
	s_mul_hi_u32 s50, s0, 0x620
	s_mul_i32 s48, s0, 0x620
	s_add_i32 s50, s50, s6
	s_mul_hi_u32 s7, s0, 0xfffffac0
	s_mul_i32 s49, s0, 0xfffffac0
	s_sub_i32 s51, s7, s0
	s_waitcnt vmcnt(27)
	v_lshrrev_b32_e32 v2, 16, v12
	s_waitcnt vmcnt(26)
	v_lshrrev_b32_e32 v3, 16, v4
	s_waitcnt vmcnt(25)
	v_mul_f16_sdwa v17, v43, v12 dst_sel:DWORD dst_unused:UNUSED_PAD src0_sel:WORD_1 src1_sel:DWORD
	s_waitcnt vmcnt(24)
	v_lshrrev_b32_e32 v18, 16, v5
	s_waitcnt vmcnt(23)
	v_mul_f16_sdwa v19, v42, v5 dst_sel:DWORD dst_unused:UNUSED_PAD src0_sel:WORD_1 src1_sel:DWORD
	s_waitcnt vmcnt(22)
	v_mul_f16_sdwa v20, v41, v4 dst_sel:DWORD dst_unused:UNUSED_PAD src0_sel:WORD_1 src1_sel:DWORD
	v_mul_f16_sdwa v21, v41, v3 dst_sel:DWORD dst_unused:UNUSED_PAD src0_sel:WORD_1 src1_sel:DWORD
	;; [unrolled: 1-line block ×3, first 2 shown]
	v_fma_f16 v2, v43, v2, -v17
	v_mul_f16_sdwa v17, v42, v18 dst_sel:DWORD dst_unused:UNUSED_PAD src0_sel:WORD_1 src1_sel:DWORD
	v_fma_f16 v3, v41, v3, -v20
	v_fmac_f16_e32 v21, v41, v4
	v_fma_f16 v4, v42, v18, -v19
	v_fmac_f16_e32 v22, v43, v12
	v_fmac_f16_e32 v17, v42, v5
	v_pack_b32_f16 v3, v21, v3
	s_waitcnt vmcnt(18)
	v_lshrrev_b32_e32 v5, 16, v6
	s_waitcnt vmcnt(16)
	v_lshrrev_b32_e32 v12, 16, v8
	v_pack_b32_f16 v4, v17, v4
	v_mul_f16_sdwa v17, v46, v8 dst_sel:DWORD dst_unused:UNUSED_PAD src0_sel:WORD_1 src1_sel:DWORD
	ds_write_b32 v54, v3 offset:1568
	v_mul_f16_sdwa v3, v45, v6 dst_sel:DWORD dst_unused:UNUSED_PAD src0_sel:WORD_1 src1_sel:DWORD
	v_mul_f16_sdwa v18, v45, v5 dst_sel:DWORD dst_unused:UNUSED_PAD src0_sel:WORD_1 src1_sel:DWORD
	v_lshrrev_b32_e32 v19, 16, v7
	v_mul_f16_sdwa v20, v44, v7 dst_sel:DWORD dst_unused:UNUSED_PAD src0_sel:WORD_1 src1_sel:DWORD
	v_pack_b32_f16 v2, v22, v2
	v_fma_f16 v3, v45, v5, -v3
	v_mul_f16_sdwa v5, v46, v12 dst_sel:DWORD dst_unused:UNUSED_PAD src0_sel:WORD_1 src1_sel:DWORD
	v_fma_f16 v12, v46, v12, -v17
	v_fmac_f16_e32 v18, v45, v6
	v_mul_f16_sdwa v6, v44, v19 dst_sel:DWORD dst_unused:UNUSED_PAD src0_sel:WORD_1 src1_sel:DWORD
	s_waitcnt vmcnt(15)
	v_lshrrev_b32_e32 v17, 16, v9
	v_fmac_f16_e32 v5, v46, v8
	s_waitcnt vmcnt(12)
	v_lshrrev_b32_e32 v8, 16, v10
	v_fma_f16 v19, v44, v19, -v20
	v_fmac_f16_e32 v6, v44, v7
	v_mul_f16_sdwa v7, v47, v17 dst_sel:DWORD dst_unused:UNUSED_PAD src0_sel:WORD_1 src1_sel:DWORD
	v_mul_f16_sdwa v20, v47, v9 dst_sel:DWORD dst_unused:UNUSED_PAD src0_sel:WORD_1 src1_sel:DWORD
	v_pack_b32_f16 v3, v18, v3
	v_mul_f16_sdwa v18, v48, v10 dst_sel:DWORD dst_unused:UNUSED_PAD src0_sel:WORD_1 src1_sel:DWORD
	v_pack_b32_f16 v5, v5, v12
	v_fmac_f16_e32 v7, v47, v9
	v_mul_f16_sdwa v9, v48, v8 dst_sel:DWORD dst_unused:UNUSED_PAD src0_sel:WORD_1 src1_sel:DWORD
	s_waitcnt vmcnt(9)
	v_lshrrev_b32_e32 v12, 16, v11
	v_pack_b32_f16 v6, v6, v19
	v_fma_f16 v17, v47, v17, -v20
	v_fma_f16 v8, v48, v8, -v18
	v_mul_f16_sdwa v18, v49, v11 dst_sel:DWORD dst_unused:UNUSED_PAD src0_sel:WORD_1 src1_sel:DWORD
	ds_write2_b32 v54, v2, v5 offset1:56
	ds_write2_b32 v56, v4, v6 offset0:192 offset1:248
	v_fmac_f16_e32 v9, v48, v10
	v_mul_f16_sdwa v4, v49, v12 dst_sel:DWORD dst_unused:UNUSED_PAD src0_sel:WORD_1 src1_sel:DWORD
	v_pack_b32_f16 v2, v7, v17
	s_waitcnt vmcnt(7)
	v_lshrrev_b32_e32 v6, 16, v13
	v_mul_f16_sdwa v7, v51, v13 dst_sel:DWORD dst_unused:UNUSED_PAD src0_sel:WORD_1 src1_sel:DWORD
	v_fma_f16 v5, v49, v12, -v18
	v_pack_b32_f16 v8, v9, v8
	v_fmac_f16_e32 v4, v49, v11
	s_waitcnt vmcnt(6)
	v_lshrrev_b32_e32 v9, 16, v14
	v_mul_f16_sdwa v10, v51, v6 dst_sel:DWORD dst_unused:UNUSED_PAD src0_sel:WORD_1 src1_sel:DWORD
	v_fma_f16 v6, v51, v6, -v7
	v_mul_f16_sdwa v7, v50, v14 dst_sel:DWORD dst_unused:UNUSED_PAD src0_sel:WORD_1 src1_sel:DWORD
	v_pack_b32_f16 v4, v4, v5
	v_mul_f16_sdwa v5, v50, v9 dst_sel:DWORD dst_unused:UNUSED_PAD src0_sel:WORD_1 src1_sel:DWORD
	s_waitcnt vmcnt(5)
	v_lshrrev_b32_e32 v11, 16, v15
	s_waitcnt vmcnt(3)
	v_lshrrev_b32_e32 v12, 16, v0
	v_fma_f16 v7, v50, v9, -v7
	v_mul_f16_sdwa v9, v52, v15 dst_sel:DWORD dst_unused:UNUSED_PAD src0_sel:WORD_1 src1_sel:DWORD
	v_fmac_f16_e32 v5, v50, v14
	s_waitcnt vmcnt(2)
	v_lshrrev_b32_e32 v14, 16, v1
	v_fmac_f16_e32 v10, v51, v13
	v_mul_f16_sdwa v13, v52, v11 dst_sel:DWORD dst_unused:UNUSED_PAD src0_sel:WORD_1 src1_sel:DWORD
	v_fma_f16 v9, v52, v11, -v9
	s_waitcnt vmcnt(1)
	v_mul_f16_sdwa v11, v40, v0 dst_sel:DWORD dst_unused:UNUSED_PAD src0_sel:WORD_1 src1_sel:DWORD
	v_mul_f16_sdwa v17, v40, v12 dst_sel:DWORD dst_unused:UNUSED_PAD src0_sel:WORD_1 src1_sel:DWORD
	s_waitcnt vmcnt(0)
	v_mul_f16_sdwa v18, v39, v1 dst_sel:DWORD dst_unused:UNUSED_PAD src0_sel:WORD_1 src1_sel:DWORD
	v_mul_f16_sdwa v19, v39, v14 dst_sel:DWORD dst_unused:UNUSED_PAD src0_sel:WORD_1 src1_sel:DWORD
	v_fmac_f16_e32 v13, v52, v15
	v_fma_f16 v11, v40, v12, -v11
	v_fmac_f16_e32 v17, v40, v0
	v_fma_f16 v0, v39, v14, -v18
	v_fmac_f16_e32 v19, v39, v1
	v_pack_b32_f16 v1, v10, v6
	v_pack_b32_f16 v5, v5, v7
	;; [unrolled: 1-line block ×5, first 2 shown]
	ds_write2_b32 v54, v3, v2 offset0:112 offset1:168
	ds_write2_b32 v53, v8, v1 offset0:48 offset1:104
	ds_write2_b32 v55, v4, v5 offset0:96 offset1:152
	ds_write_b32 v54, v7 offset:1344
	ds_write2_b32 v53, v6, v0 offset0:160 offset1:216
	s_waitcnt lgkmcnt(0)
	s_barrier
	buffer_gl0_inv
	ds_read2_b32 v[0:1], v54 offset1:56
	ds_read2_b32 v[2:3], v56 offset0:80 offset1:136
	ds_read2_b32 v[4:5], v56 offset0:192 offset1:248
	ds_read2_b32 v[8:9], v54 offset0:112 offset1:168
	ds_read2_b32 v[10:11], v53 offset0:48 offset1:104
	ds_read2_b32 v[12:13], v55 offset0:96 offset1:152
	ds_read2_b32 v[14:15], v53 offset0:160 offset1:216
	v_lshlrev_b32_e32 v7, 1, v58
	s_waitcnt lgkmcnt(0)
	s_barrier
	buffer_gl0_inv
	v_lshlrev_b32_e32 v83, 2, v7
	v_add_nc_u32_e32 v85, 0x400, v83
	v_pk_add_f16 v6, v0, v3 neg_lo:[0,1] neg_hi:[0,1]
	v_pk_add_f16 v4, v1, v4 neg_lo:[0,1] neg_hi:[0,1]
	;; [unrolled: 1-line block ×7, first 2 shown]
	v_pk_fma_f16 v5, v0, 2.0, v6 op_sel_hi:[1,0,1] neg_lo:[0,0,1] neg_hi:[0,0,1]
	v_pk_fma_f16 v3, v1, 2.0, v4 op_sel_hi:[1,0,1] neg_lo:[0,0,1] neg_hi:[0,0,1]
	;; [unrolled: 1-line block ×7, first 2 shown]
	ds_write2_b64 v84, v[5:6], v[3:4] offset1:56
	ds_write2_b64 v83, v[17:18], v[9:10] offset0:112 offset1:168
	ds_write2_b64 v85, v[19:20], v[13:14] offset0:96 offset1:152
	ds_write_b64 v83, v[21:22] offset:2688
	s_waitcnt lgkmcnt(0)
	s_barrier
	buffer_gl0_inv
	global_load_dword v60, v24, s[10:11]
	v_and_or_b32 v8, 0x7c, v7, v23
	v_add_nc_u32_e32 v0, 56, v58
	v_add_nc_u32_e32 v2, 0xe0, v7
	;; [unrolled: 1-line block ×4, first 2 shown]
	v_lshlrev_b32_e32 v62, 2, v8
	ds_read2_b32 v[8:9], v56 offset0:80 offset1:136
	ds_read2_b32 v[10:11], v54 offset1:56
	ds_read2_b32 v[12:13], v56 offset0:192 offset1:248
	ds_read2_b32 v[14:15], v53 offset0:48 offset1:104
	v_lshlrev_b32_e32 v1, 1, v0
	ds_read2_b32 v[17:18], v53 offset0:160 offset1:216
	v_add_nc_u32_e32 v5, 0x230, v7
	v_add_nc_u32_e32 v6, 0x2a0, v7
	ds_read2_b32 v[19:20], v54 offset0:112 offset1:168
	v_and_or_b32 v21, 0xfc, v1, v23
	v_and_or_b32 v30, 0x1fc, v2, v23
	;; [unrolled: 1-line block ×5, first 2 shown]
	v_lshlrev_b32_e32 v63, 2, v21
	ds_read2_b32 v[21:22], v55 offset0:96 offset1:152
	v_and_or_b32 v23, 0x3fc, v6, v23
	v_lshlrev_b32_e32 v65, 2, v31
	v_lshlrev_b32_e32 v66, 2, v32
	;; [unrolled: 1-line block ×5, first 2 shown]
	s_waitcnt lgkmcnt(6)
	v_lshrrev_b32_e32 v23, 16, v9
	s_waitcnt lgkmcnt(4)
	v_lshrrev_b32_e32 v31, 16, v12
	v_lshrrev_b32_e32 v32, 16, v13
	s_waitcnt lgkmcnt(3)
	v_lshrrev_b32_e32 v33, 16, v14
	;; [unrolled: 3-line block ×3, first 2 shown]
	v_lshrrev_b32_e32 v36, 16, v18
	v_lshrrev_b32_e32 v30, 16, v10
	;; [unrolled: 1-line block ×3, first 2 shown]
	s_waitcnt lgkmcnt(1)
	v_lshrrev_b32_e32 v38, 16, v19
	v_lshrrev_b32_e32 v59, 16, v20
	;; [unrolled: 1-line block ×3, first 2 shown]
	v_and_b32_e32 v24, 3, v58
	s_waitcnt lgkmcnt(0)
	v_lshrrev_b32_e32 v61, 16, v21
	v_lshrrev_b32_e32 v69, 16, v22
	s_waitcnt vmcnt(0)
	s_barrier
	v_lshlrev_b32_e32 v29, 2, v24
	buffer_gl0_inv
	v_mul_f16_sdwa v71, v23, v60 dst_sel:DWORD dst_unused:UNUSED_PAD src0_sel:DWORD src1_sel:WORD_1
	v_mul_f16_sdwa v72, v9, v60 dst_sel:DWORD dst_unused:UNUSED_PAD src0_sel:DWORD src1_sel:WORD_1
	;; [unrolled: 1-line block ×14, first 2 shown]
	v_fma_f16 v9, v9, v60, -v71
	v_fmac_f16_e32 v72, v23, v60
	v_fma_f16 v12, v12, v60, -v73
	v_fmac_f16_e32 v74, v31, v60
	;; [unrolled: 2-line block ×5, first 2 shown]
	v_fma_f16 v17, v17, v60, -v80
	v_fma_f16 v18, v18, v60, -v81
	v_fmac_f16_e32 v86, v35, v60
	v_fmac_f16_e32 v87, v36, v60
	v_sub_f16_e32 v9, v10, v9
	v_sub_f16_e32 v23, v30, v72
	;; [unrolled: 1-line block ×14, first 2 shown]
	v_fma_f16 v10, v10, 2.0, -v9
	v_fma_f16 v30, v30, 2.0, -v23
	v_pack_b32_f16 v9, v9, v23
	v_fma_f16 v11, v11, 2.0, -v12
	v_fma_f16 v23, v37, 2.0, -v31
	;; [unrolled: 1-line block ×3, first 2 shown]
	v_pack_b32_f16 v12, v12, v31
	v_fma_f16 v31, v38, 2.0, -v32
	v_fma_f16 v20, v20, 2.0, -v14
	v_pack_b32_f16 v13, v13, v32
	v_fma_f16 v32, v59, 2.0, -v33
	v_fma_f16 v21, v21, 2.0, -v15
	;; [unrolled: 3-line block ×3, first 2 shown]
	v_fma_f16 v8, v8, 2.0, -v18
	v_pack_b32_f16 v15, v15, v34
	v_fma_f16 v34, v69, 2.0, -v35
	v_pack_b32_f16 v17, v17, v35
	;; [unrolled: 2-line block ×3, first 2 shown]
	v_pack_b32_f16 v11, v11, v23
	v_pack_b32_f16 v19, v19, v31
	;; [unrolled: 1-line block ×7, first 2 shown]
	ds_write2_b32 v62, v10, v9 offset1:2
	ds_write2_b32 v63, v11, v12 offset1:2
	ds_write2_b32 v64, v19, v13 offset1:2
	ds_write2_b32 v65, v20, v14 offset1:2
	ds_write2_b32 v66, v21, v15 offset1:2
	ds_write2_b32 v67, v22, v17 offset1:2
	ds_write2_b32 v68, v8, v18 offset1:2
	s_waitcnt lgkmcnt(0)
	s_barrier
	buffer_gl0_inv
	global_load_dword v61, v29, s[10:11] offset:8
	v_and_or_b32 v9, 0x78, v7, v24
	v_and_or_b32 v23, 0xf8, v1, v24
	;; [unrolled: 1-line block ×5, first 2 shown]
	v_lshlrev_b32_e32 v69, 2, v9
	ds_read2_b32 v[9:10], v56 offset0:80 offset1:136
	ds_read2_b32 v[11:12], v54 offset1:56
	ds_read2_b32 v[13:14], v56 offset0:192 offset1:248
	ds_read2_b32 v[17:18], v54 offset0:112 offset1:168
	;; [unrolled: 1-line block ×4, first 2 shown]
	v_and_or_b32 v32, 0x2f8, v5, v24
	v_and_or_b32 v33, 0x3f8, v6, v24
	v_lshlrev_b32_e32 v70, 2, v23
	ds_read2_b32 v[23:24], v55 offset0:96 offset1:152
	v_lshlrev_b32_e32 v71, 2, v29
	v_lshlrev_b32_e32 v73, 2, v31
	;; [unrolled: 1-line block ×5, first 2 shown]
	v_and_b32_e32 v8, 7, v58
	s_waitcnt vmcnt(0) lgkmcnt(0)
	s_barrier
	buffer_gl0_inv
	v_lshlrev_b32_e32 v15, 2, v8
	v_lshrrev_b32_e32 v29, 16, v10
	v_lshrrev_b32_e32 v30, 16, v11
	;; [unrolled: 1-line block ×14, first 2 shown]
	v_and_or_b32 v7, 0x70, v7, v8
	v_mul_f16_sdwa v79, v29, v61 dst_sel:DWORD dst_unused:UNUSED_PAD src0_sel:DWORD src1_sel:WORD_1
	v_mul_f16_sdwa v80, v10, v61 dst_sel:DWORD dst_unused:UNUSED_PAD src0_sel:DWORD src1_sel:WORD_1
	;; [unrolled: 1-line block ×14, first 2 shown]
	v_fma_f16 v10, v10, v61, -v79
	v_fmac_f16_e32 v80, v29, v61
	v_fmac_f16_e32 v81, v31, v61
	v_fma_f16 v13, v13, v61, -v82
	v_fma_f16 v14, v14, v61, -v86
	v_fmac_f16_e32 v87, v33, v61
	v_fmac_f16_e32 v88, v35, v61
	v_fma_f16 v19, v19, v61, -v89
	v_fma_f16 v20, v20, v61, -v90
	v_fmac_f16_e32 v91, v37, v61
	v_fma_f16 v21, v21, v61, -v92
	v_fma_f16 v22, v22, v61, -v93
	v_fmac_f16_e32 v94, v38, v61
	v_fmac_f16_e32 v95, v59, v61
	v_sub_f16_e32 v10, v11, v10
	v_sub_f16_e32 v29, v30, v80
	;; [unrolled: 1-line block ×14, first 2 shown]
	v_fma_f16 v11, v11, 2.0, -v10
	v_fma_f16 v30, v30, 2.0, -v29
	v_pack_b32_f16 v10, v10, v29
	v_fma_f16 v12, v12, 2.0, -v13
	v_fma_f16 v29, v32, 2.0, -v31
	v_pack_b32_f16 v13, v13, v31
	v_fma_f16 v31, v34, 2.0, -v33
	v_pack_b32_f16 v32, v14, v33
	v_fma_f16 v14, v17, 2.0, -v14
	v_fma_f16 v17, v18, 2.0, -v19
	;; [unrolled: 1-line block ×5, first 2 shown]
	v_pack_b32_f16 v19, v19, v35
	v_fma_f16 v24, v24, 2.0, -v21
	v_fma_f16 v9, v9, 2.0, -v22
	;; [unrolled: 1-line block ×4, first 2 shown]
	v_pack_b32_f16 v11, v11, v30
	v_pack_b32_f16 v12, v12, v29
	;; [unrolled: 1-line block ×10, first 2 shown]
	ds_write2_b32 v69, v11, v10 offset1:4
	ds_write2_b32 v70, v12, v13 offset1:4
	;; [unrolled: 1-line block ×7, first 2 shown]
	s_waitcnt lgkmcnt(0)
	s_barrier
	buffer_gl0_inv
	global_load_dword v59, v15, s[10:11] offset:24
	v_and_or_b32 v15, 0xf0, v1, v8
	v_and_or_b32 v22, 0x1f0, v2, v8
	;; [unrolled: 1-line block ×4, first 2 shown]
	ds_read2_b32 v[1:2], v56 offset0:80 offset1:136
	ds_read2_b32 v[3:4], v54 offset1:56
	ds_read2_b32 v[11:12], v56 offset0:192 offset1:248
	v_lshlrev_b32_e32 v76, 2, v7
	v_and_or_b32 v30, 0x2f0, v5, v8
	v_and_or_b32 v31, 0x3f0, v6, v8
	ds_read2_b32 v[5:6], v54 offset0:112 offset1:168
	ds_read2_b32 v[7:8], v53 offset0:48 offset1:104
	ds_read2_b32 v[13:14], v53 offset0:160 offset1:216
	ds_read2_b32 v[17:18], v55 offset0:96 offset1:152
	v_lshlrev_b32_e32 v77, 2, v15
	v_lshlrev_b32_e32 v79, 2, v23
	;; [unrolled: 1-line block ×6, first 2 shown]
	v_and_b32_e32 v21, 15, v58
	v_and_b32_e32 v24, 15, v0
	s_waitcnt vmcnt(0) lgkmcnt(0)
	s_barrier
	buffer_gl0_inv
	v_lshrrev_b32_e32 v15, 16, v2
	v_lshrrev_b32_e32 v22, 16, v3
	;; [unrolled: 1-line block ×14, first 2 shown]
	v_mad_u64_u32 v[9:10], null, v21, 24, s[10:11]
	v_mad_u64_u32 v[19:20], null, v24, 24, s[10:11]
	v_lshrrev_b32_e32 v0, 4, v0
	v_mul_f16_sdwa v87, v15, v59 dst_sel:DWORD dst_unused:UNUSED_PAD src0_sel:DWORD src1_sel:WORD_1
	v_mul_f16_sdwa v88, v2, v59 dst_sel:DWORD dst_unused:UNUSED_PAD src0_sel:DWORD src1_sel:WORD_1
	;; [unrolled: 1-line block ×14, first 2 shown]
	v_fmac_f16_e32 v88, v15, v59
	v_fma_f16 v2, v2, v59, -v87
	v_fmac_f16_e32 v89, v23, v59
	v_fma_f16 v11, v11, v59, -v90
	v_fma_f16 v12, v12, v59, -v91
	v_fmac_f16_e32 v92, v30, v59
	v_fmac_f16_e32 v93, v32, v59
	v_fma_f16 v7, v7, v59, -v94
	v_fma_f16 v8, v8, v59, -v95
	;; [unrolled: 1-line block ×3, first 2 shown]
	v_fmac_f16_e32 v96, v34, v59
	v_fmac_f16_e32 v99, v35, v59
	v_fma_f16 v14, v14, v59, -v98
	v_fmac_f16_e32 v100, v36, v59
	v_sub_f16_e32 v15, v22, v88
	v_sub_f16_e32 v2, v3, v2
	;; [unrolled: 1-line block ×14, first 2 shown]
	v_fma_f16 v22, v22, 2.0, -v15
	v_pack_b32_f16 v15, v2, v15
	v_fma_f16 v2, v3, 2.0, -v2
	v_fma_f16 v3, v4, 2.0, -v11
	;; [unrolled: 1-line block ×3, first 2 shown]
	v_pack_b32_f16 v11, v11, v23
	v_fma_f16 v23, v31, 2.0, -v30
	v_fma_f16 v5, v5, 2.0, -v12
	v_pack_b32_f16 v29, v12, v30
	v_fma_f16 v6, v6, 2.0, -v7
	v_fma_f16 v12, v33, 2.0, -v32
	;; [unrolled: 1-line block ×6, first 2 shown]
	v_pack_b32_f16 v7, v7, v32
	v_fma_f16 v1, v1, 2.0, -v14
	v_fma_f16 v32, v86, 2.0, -v36
	v_pack_b32_f16 v2, v2, v22
	v_pack_b32_f16 v3, v3, v4
	;; [unrolled: 1-line block ×10, first 2 shown]
	ds_write2_b32 v76, v2, v15 offset1:8
	ds_write2_b32 v77, v3, v11 offset1:8
	;; [unrolled: 1-line block ×7, first 2 shown]
	s_waitcnt lgkmcnt(0)
	s_barrier
	buffer_gl0_inv
	s_clause 0x3
	global_load_dwordx4 v[12:15], v[9:10], off offset:56
	global_load_dwordx2 v[17:18], v[9:10], off offset:72
	global_load_dwordx4 v[8:11], v[19:20], off offset:56
	global_load_dwordx2 v[19:20], v[19:20], off offset:72
	v_lshrrev_b32_e32 v1, 4, v58
	v_mul_u32_u24_e32 v32, 0x70, v0
	v_mul_u32_u24_e32 v31, 0x70, v1
	ds_read2_b32 v[0:1], v54 offset0:112 offset1:168
	ds_read2_b32 v[2:3], v53 offset0:160 offset1:216
	;; [unrolled: 1-line block ×6, first 2 shown]
	v_or_b32_e32 v24, v32, v24
	ds_read2_b32 v[33:34], v54 offset1:56
	s_waitcnt vmcnt(0) lgkmcnt(0)
	v_or_b32_e32 v21, v31, v21
	v_mad_u64_u32 v[31:32], null, v58, 24, s[10:11]
	v_lshlrev_b32_e32 v86, 2, v24
	s_barrier
	v_lshlrev_b32_e32 v87, 2, v21
	buffer_gl0_inv
	v_lshrrev_b32_e32 v21, 16, v0
	v_lshrrev_b32_e32 v24, 16, v2
	;; [unrolled: 1-line block ×12, first 2 shown]
	v_mul_f16_sdwa v94, v0, v12 dst_sel:DWORD dst_unused:UNUSED_PAD src0_sel:DWORD src1_sel:WORD_1
	v_mul_f16_sdwa v95, v21, v12 dst_sel:DWORD dst_unused:UNUSED_PAD src0_sel:DWORD src1_sel:WORD_1
	;; [unrolled: 1-line block ×24, first 2 shown]
	v_fma_f16 v0, v0, v12, -v95
	v_fma_f16 v1, v1, v8, -v100
	;; [unrolled: 1-line block ×6, first 2 shown]
	v_fmac_f16_e32 v94, v21, v12
	v_fmac_f16_e32 v96, v24, v18
	;; [unrolled: 1-line block ×6, first 2 shown]
	v_fma_f16 v2, v2, v18, -v111
	v_fma_f16 v6, v6, v17, -v113
	;; [unrolled: 1-line block ×4, first 2 shown]
	v_fmac_f16_e32 v104, v88, v8
	v_fmac_f16_e32 v106, v89, v9
	;; [unrolled: 1-line block ×4, first 2 shown]
	v_fma_f16 v23, v23, v10, -v105
	v_fma_f16 v30, v30, v11, -v107
	v_fmac_f16_e32 v108, v90, v10
	v_fmac_f16_e32 v110, v91, v11
	v_add_f16_e32 v21, v0, v2
	v_sub_f16_e32 v0, v0, v2
	v_add_f16_e32 v2, v94, v96
	v_sub_f16_e32 v24, v94, v96
	v_add_f16_e32 v35, v4, v6
	v_sub_f16_e32 v4, v4, v6
	v_add_f16_e32 v6, v97, v112
	v_sub_f16_e32 v36, v97, v112
	v_add_f16_e32 v37, v22, v29
	v_sub_f16_e32 v22, v29, v22
	v_add_f16_e32 v29, v99, v109
	v_sub_f16_e32 v38, v109, v99
	v_add_f16_e32 v88, v1, v3
	v_sub_f16_e32 v1, v1, v3
	v_add_f16_e32 v3, v104, v115
	v_add_f16_e32 v90, v5, v7
	v_sub_f16_e32 v5, v5, v7
	v_add_f16_e32 v7, v106, v117
	v_add_f16_e32 v92, v23, v30
	v_sub_f16_e32 v23, v30, v23
	v_add_f16_e32 v30, v108, v110
	v_add_f16_e32 v94, v35, v21
	;; [unrolled: 1-line block ×3, first 2 shown]
	v_sub_f16_e32 v96, v21, v37
	v_sub_f16_e32 v97, v37, v35
	v_sub_f16_e32 v98, v2, v29
	v_sub_f16_e32 v99, v29, v6
	v_add_f16_e32 v100, v22, v4
	v_sub_f16_e32 v101, v22, v4
	v_add_f16_e32 v102, v38, v36
	v_sub_f16_e32 v103, v38, v36
	v_sub_f16_e32 v21, v35, v21
	;; [unrolled: 1-line block ×5, first 2 shown]
	v_add_f16_e32 v35, v90, v88
	v_add_f16_e32 v36, v7, v3
	v_sub_f16_e32 v89, v104, v115
	v_sub_f16_e32 v91, v106, v117
	;; [unrolled: 1-line block ×11, first 2 shown]
	v_add_f16_e32 v106, v23, v5
	v_sub_f16_e32 v107, v23, v5
	v_sub_f16_e32 v5, v5, v1
	v_add_f16_e32 v37, v37, v94
	v_add_f16_e32 v29, v29, v95
	;; [unrolled: 1-line block ×5, first 2 shown]
	v_mul_f16_e32 v36, 0xb846, v101
	v_mul_f16_e32 v92, 0x3a52, v96
	;; [unrolled: 1-line block ×8, first 2 shown]
	v_add_f16_e32 v108, v93, v91
	v_sub_f16_e32 v109, v93, v91
	v_sub_f16_e32 v91, v91, v89
	;; [unrolled: 1-line block ×3, first 2 shown]
	v_add_f16_e32 v24, v102, v24
	v_add_f16_e32 v1, v106, v1
	v_mul_f16_e32 v102, 0x3a52, v104
	v_mul_f16_e32 v104, 0xb846, v107
	;; [unrolled: 1-line block ×3, first 2 shown]
	v_fmamk_f16 v97, v97, 0x2b26, v92
	v_fma_f16 v95, v21, 0x39e0, -v95
	v_fma_f16 v21, v21, 0xb9e0, -v92
	;; [unrolled: 1-line block ×3, first 2 shown]
	v_fmamk_f16 v36, v22, 0x3574, v36
	v_fmac_f16_e32 v98, 0xb574, v22
	v_fmamk_f16 v22, v38, 0x3574, v96
	v_fmamk_f16 v92, v99, 0x2b26, v94
	v_fmac_f16_e32 v100, 0xb574, v38
	v_fma_f16 v38, v2, 0x39e0, -v101
	v_fma_f16 v2, v2, 0xb9e0, -v94
	v_add_f16_e32 v94, v33, v37
	v_add_f16_sdwa v33, v33, v29 dst_sel:DWORD dst_unused:UNUSED_PAD src0_sel:WORD_1 src1_sel:DWORD
	v_sub_f16_e32 v93, v89, v93
	v_add_f16_e32 v89, v108, v89
	v_mul_f16_e32 v103, 0x2b26, v90
	v_mul_f16_e32 v107, 0xb846, v109
	;; [unrolled: 1-line block ×5, first 2 shown]
	v_fma_f16 v6, v6, 0x3b00, -v96
	v_add_f16_e32 v96, v34, v35
	v_add_f16_sdwa v34, v34, v30 dst_sel:DWORD dst_unused:UNUSED_PAD src0_sel:WORD_1 src1_sel:DWORD
	v_fma_f16 v5, v5, 0x3b00, -v104
	v_fmamk_f16 v101, v23, 0x3574, v104
	v_fmac_f16_e32 v106, 0xb574, v23
	v_fmamk_f16 v37, v37, 0xbcab, v94
	v_fmamk_f16 v29, v29, 0xbcab, v33
	;; [unrolled: 1-line block ×3, first 2 shown]
	v_fma_f16 v99, v88, 0x39e0, -v103
	v_fma_f16 v88, v88, 0xb9e0, -v102
	;; [unrolled: 1-line block ×3, first 2 shown]
	v_fmamk_f16 v91, v93, 0x3574, v107
	v_fmac_f16_e32 v108, 0xb574, v93
	v_fmamk_f16 v7, v7, 0x2b26, v105
	v_fma_f16 v93, v3, 0x39e0, -v109
	v_fma_f16 v3, v3, 0xb9e0, -v105
	v_fmac_f16_e32 v36, 0x370e, v0
	v_fmac_f16_e32 v4, 0x370e, v0
	v_fmac_f16_e32 v98, 0x370e, v0
	v_fmac_f16_e32 v22, 0x370e, v24
	v_fmac_f16_e32 v6, 0x370e, v24
	v_fmac_f16_e32 v100, 0x370e, v24
	v_fmamk_f16 v0, v35, 0xbcab, v96
	v_fmamk_f16 v24, v30, 0xbcab, v34
	v_pack_b32_f16 v30, v96, v34
	v_fmac_f16_e32 v101, 0x370e, v1
	v_fmac_f16_e32 v5, 0x370e, v1
	;; [unrolled: 1-line block ×3, first 2 shown]
	v_add_f16_e32 v1, v97, v37
	v_add_f16_e32 v34, v92, v29
	v_add_f16_e32 v35, v95, v37
	v_add_f16_e32 v21, v21, v37
	v_add_f16_e32 v2, v2, v29
	v_add_f16_e32 v29, v38, v29
	v_fmac_f16_e32 v91, 0x370e, v89
	v_fmac_f16_e32 v23, 0x370e, v89
	;; [unrolled: 1-line block ×3, first 2 shown]
	v_add_f16_e32 v37, v90, v0
	v_add_f16_e32 v7, v7, v24
	;; [unrolled: 1-line block ×7, first 2 shown]
	v_sub_f16_e32 v89, v34, v36
	v_pack_b32_f16 v33, v94, v33
	v_add_f16_e32 v90, v100, v21
	v_sub_f16_e32 v92, v2, v98
	v_sub_f16_e32 v93, v35, v6
	v_add_f16_e32 v94, v4, v29
	v_add_f16_e32 v6, v6, v35
	v_sub_f16_e32 v4, v29, v4
	v_sub_f16_e32 v21, v21, v100
	v_add_f16_e32 v2, v98, v2
	v_sub_f16_e32 v1, v1, v22
	v_add_f16_e32 v22, v36, v34
	v_add_f16_e32 v29, v91, v37
	v_sub_f16_e32 v34, v7, v101
	v_add_f16_e32 v35, v108, v0
	v_sub_f16_e32 v36, v3, v106
	v_sub_f16_e32 v95, v38, v23
	v_add_f16_e32 v96, v5, v24
	v_add_f16_e32 v23, v23, v38
	v_sub_f16_e32 v5, v24, v5
	v_sub_f16_e32 v0, v0, v108
	v_add_f16_e32 v3, v106, v3
	v_sub_f16_e32 v24, v37, v91
	v_add_f16_e32 v7, v101, v7
	v_pack_b32_f16 v37, v88, v89
	v_pack_b32_f16 v38, v90, v92
	;; [unrolled: 1-line block ×12, first 2 shown]
	ds_write2_b32 v87, v33, v37 offset1:16
	ds_write2_b32 v87, v38, v88 offset0:32 offset1:48
	ds_write2_b32 v87, v4, v2 offset0:64 offset1:80
	ds_write_b32 v87, v1 offset:384
	ds_write2_b32 v86, v30, v6 offset1:16
	ds_write2_b32 v86, v21, v22 offset0:32 offset1:48
	ds_write2_b32 v86, v5, v0 offset0:64 offset1:80
	ds_write_b32 v86, v3 offset:384
	s_waitcnt lgkmcnt(0)
	s_barrier
	buffer_gl0_inv
	s_clause 0x3
	global_load_dwordx4 v[0:3], v[31:32], off offset:440
	global_load_dwordx4 v[4:7], v[31:32], off offset:1784
	global_load_dwordx2 v[23:24], v[31:32], off offset:456
	global_load_dwordx2 v[21:22], v[31:32], off offset:1800
	ds_read2_b32 v[29:30], v54 offset0:112 offset1:168
	ds_read2_b32 v[31:32], v55 offset0:96 offset1:152
	;; [unrolled: 1-line block ×6, first 2 shown]
	ds_read2_b32 v[90:91], v54 offset1:56
	s_waitcnt lgkmcnt(6)
	v_lshrrev_b32_e32 v93, 16, v30
	s_waitcnt lgkmcnt(5)
	v_lshrrev_b32_e32 v95, 16, v32
	v_lshrrev_b32_e32 v92, 16, v29
	;; [unrolled: 1-line block ×3, first 2 shown]
	s_waitcnt lgkmcnt(4)
	v_lshrrev_b32_e32 v96, 16, v33
	s_waitcnt lgkmcnt(3)
	v_lshrrev_b32_e32 v98, 16, v35
	;; [unrolled: 2-line block ×4, first 2 shown]
	v_lshrrev_b32_e32 v97, 16, v34
	v_lshrrev_b32_e32 v99, 16, v36
	;; [unrolled: 1-line block ×4, first 2 shown]
	s_waitcnt vmcnt(3)
	v_mul_f16_sdwa v104, v92, v0 dst_sel:DWORD dst_unused:UNUSED_PAD src0_sel:DWORD src1_sel:WORD_1
	s_waitcnt vmcnt(2)
	v_mul_f16_sdwa v105, v93, v4 dst_sel:DWORD dst_unused:UNUSED_PAD src0_sel:DWORD src1_sel:WORD_1
	v_mul_f16_sdwa v109, v95, v5 dst_sel:DWORD dst_unused:UNUSED_PAD src0_sel:DWORD src1_sel:WORD_1
	;; [unrolled: 1-line block ×11, first 2 shown]
	s_waitcnt vmcnt(1)
	v_mul_f16_sdwa v120, v100, v23 dst_sel:DWORD dst_unused:UNUSED_PAD src0_sel:DWORD src1_sel:WORD_1
	v_mul_f16_sdwa v122, v37, v23 dst_sel:DWORD dst_unused:UNUSED_PAD src0_sel:DWORD src1_sel:WORD_1
	v_fma_f16 v30, v30, v4, -v105
	v_mul_f16_sdwa v105, v102, v24 dst_sel:DWORD dst_unused:UNUSED_PAD src0_sel:DWORD src1_sel:WORD_1
	v_fma_f16 v32, v32, v5, -v109
	v_mul_f16_sdwa v109, v88, v24 dst_sel:DWORD dst_unused:UNUSED_PAD src0_sel:DWORD src1_sel:WORD_1
	v_mul_f16_sdwa v113, v97, v6 dst_sel:DWORD dst_unused:UNUSED_PAD src0_sel:DWORD src1_sel:WORD_1
	;; [unrolled: 1-line block ×4, first 2 shown]
	s_waitcnt vmcnt(0)
	v_mul_f16_sdwa v121, v101, v21 dst_sel:DWORD dst_unused:UNUSED_PAD src0_sel:DWORD src1_sel:WORD_1
	v_fma_f16 v29, v29, v0, -v104
	v_mul_f16_sdwa v104, v38, v21 dst_sel:DWORD dst_unused:UNUSED_PAD src0_sel:DWORD src1_sel:WORD_1
	v_fma_f16 v31, v31, v1, -v108
	;; [unrolled: 2-line block ×4, first 2 shown]
	v_fma_f16 v37, v37, v23, -v120
	v_fma_f16 v88, v88, v24, -v105
	v_fmac_f16_e32 v106, v92, v0
	v_fmac_f16_e32 v110, v94, v1
	;; [unrolled: 1-line block ×6, first 2 shown]
	v_mul_f16_sdwa v119, v36, v7 dst_sel:DWORD dst_unused:UNUSED_PAD src0_sel:DWORD src1_sel:WORD_1
	v_fma_f16 v34, v34, v6, -v113
	v_fma_f16 v36, v36, v7, -v117
	v_fma_f16 v38, v38, v21, -v121
	v_fma_f16 v89, v89, v22, -v108
	v_fmac_f16_e32 v107, v93, v4
	v_fmac_f16_e32 v111, v95, v5
	;; [unrolled: 1-line block ×5, first 2 shown]
	v_add_f16_e32 v92, v29, v88
	v_sub_f16_e32 v29, v29, v88
	v_add_f16_e32 v88, v106, v109
	v_sub_f16_e32 v93, v106, v109
	;; [unrolled: 2-line block ×6, first 2 shown]
	v_fmac_f16_e32 v119, v99, v7
	v_add_f16_e32 v98, v30, v89
	v_sub_f16_e32 v30, v30, v89
	v_add_f16_e32 v89, v107, v112
	v_sub_f16_e32 v99, v107, v112
	v_add_f16_e32 v100, v32, v38
	v_sub_f16_e32 v32, v32, v38
	v_add_f16_e32 v38, v111, v104
	v_sub_f16_e32 v101, v111, v104
	v_add_f16_e32 v102, v34, v36
	v_sub_f16_e32 v34, v36, v34
	v_add_f16_e32 v104, v94, v92
	v_sub_f16_e32 v105, v94, v92
	v_sub_f16_e32 v92, v92, v96
	v_sub_f16_e32 v94, v96, v94
	v_add_f16_e32 v106, v37, v88
	v_sub_f16_e32 v107, v37, v88
	v_sub_f16_e32 v37, v35, v37
	v_add_f16_e32 v108, v33, v31
	;; [unrolled: 3-line block ×4, first 2 shown]
	v_sub_f16_e32 v103, v119, v115
	v_sub_f16_e32 v88, v88, v35
	;; [unrolled: 1-line block ×4, first 2 shown]
	v_add_f16_e32 v112, v100, v98
	v_sub_f16_e32 v113, v100, v98
	v_sub_f16_e32 v100, v102, v100
	v_add_f16_e32 v114, v38, v89
	v_add_f16_e32 v116, v34, v32
	v_sub_f16_e32 v117, v34, v32
	v_sub_f16_e32 v32, v32, v30
	v_add_f16_e32 v96, v96, v104
	v_add_f16_e32 v35, v35, v106
	;; [unrolled: 1-line block ×4, first 2 shown]
	v_mul_f16_e32 v92, 0x3a52, v92
	v_mul_f16_e32 v104, 0x2b26, v94
	;; [unrolled: 1-line block ×7, first 2 shown]
	v_sub_f16_e32 v98, v98, v102
	v_sub_f16_e32 v115, v38, v89
	;; [unrolled: 1-line block ×5, first 2 shown]
	v_add_f16_e32 v118, v103, v101
	v_sub_f16_e32 v119, v103, v101
	v_sub_f16_e32 v101, v101, v99
	v_add_f16_e32 v102, v102, v112
	v_add_f16_e32 v36, v36, v114
	;; [unrolled: 1-line block ×3, first 2 shown]
	v_mul_f16_e32 v88, 0x3a52, v88
	v_mul_f16_e32 v112, 0x2b26, v100
	;; [unrolled: 1-line block ×4, first 2 shown]
	v_fmamk_f16 v94, v94, 0x2b26, v92
	v_fma_f16 v104, v105, 0x39e0, -v104
	v_fma_f16 v92, v105, 0xb9e0, -v92
	v_fma_f16 v105, v107, 0x39e0, -v106
	v_fma_f16 v31, v31, 0x3b00, -v108
	v_fmamk_f16 v106, v33, 0x3574, v108
	v_fmac_f16_e32 v109, 0xb574, v33
	v_fma_f16 v33, v95, 0x3b00, -v110
	v_fmamk_f16 v95, v97, 0x3574, v110
	v_fmac_f16_e32 v111, 0xb574, v97
	s_waitcnt lgkmcnt(0)
	v_add_f16_e32 v97, v90, v96
	v_add_f16_sdwa v90, v90, v35 dst_sel:DWORD dst_unused:UNUSED_PAD src0_sel:WORD_1 src1_sel:DWORD
	v_sub_f16_e32 v103, v99, v103
	v_add_f16_e32 v99, v118, v99
	v_mul_f16_e32 v98, 0x3a52, v98
	v_mul_f16_e32 v89, 0x3a52, v89
	;; [unrolled: 1-line block ×5, first 2 shown]
	v_fmamk_f16 v37, v37, 0x2b26, v88
	v_fma_f16 v88, v107, 0xb9e0, -v88
	v_add_f16_e32 v107, v91, v102
	v_add_f16_sdwa v91, v91, v36 dst_sel:DWORD dst_unused:UNUSED_PAD src0_sel:WORD_1 src1_sel:DWORD
	v_fma_f16 v108, v113, 0x39e0, -v112
	v_fma_f16 v32, v32, 0x3b00, -v116
	v_fmamk_f16 v112, v34, 0x3574, v116
	v_fmac_f16_e32 v117, 0xb574, v34
	v_fmac_f16_e32 v106, 0x370e, v29
	;; [unrolled: 1-line block ×4, first 2 shown]
	v_fmamk_f16 v29, v96, 0xbcab, v97
	v_fmamk_f16 v35, v35, 0xbcab, v90
	v_fmamk_f16 v100, v100, 0x2b26, v98
	v_fma_f16 v98, v113, 0xb9e0, -v98
	v_fmamk_f16 v38, v38, 0x2b26, v89
	v_fma_f16 v110, v115, 0x39e0, -v114
	v_fma_f16 v89, v115, 0xb9e0, -v89
	;; [unrolled: 1-line block ×3, first 2 shown]
	v_fmamk_f16 v101, v103, 0x3574, v118
	v_fmac_f16_e32 v119, 0xb574, v103
	v_fmac_f16_e32 v95, 0x370e, v93
	;; [unrolled: 1-line block ×4, first 2 shown]
	v_fmamk_f16 v93, v102, 0xbcab, v107
	v_fmamk_f16 v36, v36, 0xbcab, v91
	v_fmac_f16_e32 v112, 0x370e, v30
	v_fmac_f16_e32 v32, 0x370e, v30
	;; [unrolled: 1-line block ×3, first 2 shown]
	v_add_f16_e32 v30, v94, v29
	v_add_f16_e32 v37, v37, v35
	v_pack_b32_f16 v96, v107, v91
	v_add_f16_e32 v91, v104, v29
	v_add_f16_e32 v29, v92, v29
	v_add_f16_e32 v92, v105, v35
	v_add_f16_e32 v35, v88, v35
	v_pack_b32_f16 v90, v97, v90
	v_fmac_f16_e32 v101, 0x370e, v99
	v_fmac_f16_e32 v34, 0x370e, v99
	v_fmac_f16_e32 v119, 0x370e, v99
	v_add_f16_e32 v88, v100, v93
	v_add_f16_e32 v94, v108, v93
	;; [unrolled: 1-line block ×7, first 2 shown]
	v_sub_f16_e32 v30, v30, v95
	v_sub_f16_e32 v95, v37, v106
	;; [unrolled: 1-line block ×3, first 2 shown]
	v_add_f16_e32 v33, v33, v91
	v_add_f16_e32 v91, v31, v92
	v_sub_f16_e32 v31, v92, v31
	v_add_f16_e32 v92, v111, v29
	v_sub_f16_e32 v98, v35, v109
	v_sub_f16_e32 v29, v29, v111
	v_add_f16_e32 v35, v109, v35
	v_add_f16_e32 v37, v106, v37
	v_sub_f16_e32 v100, v94, v34
	v_add_f16_e32 v34, v34, v94
	v_add_f16_e32 v94, v32, v97
	v_sub_f16_e32 v32, v97, v32
	v_add_f16_e32 v97, v119, v93
	v_sub_f16_e32 v93, v93, v119
	v_sub_f16_e32 v102, v36, v117
	v_add_f16_e32 v36, v117, v36
	v_add_f16_e32 v103, v101, v88
	v_sub_f16_e32 v88, v88, v101
	v_sub_f16_e32 v101, v38, v112
	v_add_f16_e32 v38, v112, v38
	v_pack_b32_f16 v95, v99, v95
	v_pack_b32_f16 v92, v92, v98
	;; [unrolled: 1-line block ×12, first 2 shown]
	ds_write_b32 v54, v95 offset:448
	ds_write_b32 v54, v92 offset:896
	ds_write_b32 v54, v89 offset:1344
	ds_write_b32 v54, v31 offset:1792
	ds_write_b32 v54, v29 offset:2240
	ds_write_b32 v54, v30 offset:2688
	ds_write2_b32 v54, v90, v96 offset1:56
	ds_write_b32 v54, v33 offset:672
	ds_write_b32 v54, v35 offset:1120
	;; [unrolled: 1-line block ×6, first 2 shown]
	s_waitcnt lgkmcnt(0)
	s_barrier
	buffer_gl0_inv
	global_load_dword v30, v[25:26], off offset:1088
	v_add_co_u32 v25, vcc_lo, 0xc40, v28
	v_add_co_ci_u32_e32 v26, vcc_lo, 0, v27, vcc_lo
	v_add_co_u32 v28, vcc_lo, 0x1000, v28
	v_add_co_ci_u32_e32 v29, vcc_lo, 0, v27, vcc_lo
	s_clause 0xc
	global_load_dword v33, v[25:26], off offset:224
	global_load_dword v37, v[25:26], off offset:2016
	;; [unrolled: 1-line block ×13, first 2 shown]
	ds_read2_b32 v[25:26], v54 offset1:56
	v_add_nc_u32_e32 v98, 0x600, v54
	s_waitcnt lgkmcnt(0)
	v_lshrrev_b32_e32 v27, 16, v25
	v_lshrrev_b32_e32 v34, 16, v26
	s_waitcnt vmcnt(13)
	v_mul_f16_sdwa v28, v25, v30 dst_sel:DWORD dst_unused:UNUSED_PAD src0_sel:DWORD src1_sel:WORD_1
	v_mul_f16_sdwa v29, v27, v30 dst_sel:DWORD dst_unused:UNUSED_PAD src0_sel:DWORD src1_sel:WORD_1
	v_fmac_f16_e32 v28, v27, v30
	v_fma_f16 v25, v25, v30, -v29
	s_waitcnt vmcnt(12)
	v_mul_f16_sdwa v35, v26, v33 dst_sel:DWORD dst_unused:UNUSED_PAD src0_sel:DWORD src1_sel:WORD_1
	v_pack_b32_f16 v25, v25, v28
	v_fmac_f16_e32 v35, v34, v33
	ds_write_b32 v54, v25
	ds_read2_b32 v[27:28], v56 offset0:192 offset1:248
	v_mul_f16_sdwa v25, v34, v33 dst_sel:DWORD dst_unused:UNUSED_PAD src0_sel:DWORD src1_sel:WORD_1
	ds_read2_b32 v[31:32], v53 offset0:48 offset1:104
	ds_read2_b32 v[29:30], v54 offset0:112 offset1:168
	v_fma_f16 v36, v26, v33, -v25
	ds_read2_b32 v[33:34], v56 offset0:80 offset1:136
	ds_read2_b32 v[25:26], v55 offset0:96 offset1:152
	v_pack_b32_f16 v99, v36, v35
	ds_read2_b32 v[35:36], v53 offset0:160 offset1:216
	s_waitcnt lgkmcnt(5)
	v_lshrrev_b32_e32 v100, 16, v28
	s_waitcnt vmcnt(11)
	v_mul_f16_sdwa v101, v28, v37 dst_sel:DWORD dst_unused:UNUSED_PAD src0_sel:DWORD src1_sel:WORD_1
	s_waitcnt lgkmcnt(4)
	v_lshrrev_b32_e32 v108, 16, v31
	s_waitcnt vmcnt(10)
	v_mul_f16_sdwa v109, v31, v38 dst_sel:DWORD dst_unused:UNUSED_PAD src0_sel:DWORD src1_sel:WORD_1
	v_lshrrev_b32_e32 v102, 16, v27
	v_mul_f16_sdwa v120, v100, v37 dst_sel:DWORD dst_unused:UNUSED_PAD src0_sel:DWORD src1_sel:WORD_1
	s_waitcnt vmcnt(6)
	v_mul_f16_sdwa v103, v27, v91 dst_sel:DWORD dst_unused:UNUSED_PAD src0_sel:DWORD src1_sel:WORD_1
	s_waitcnt lgkmcnt(2)
	v_lshrrev_b32_e32 v116, 16, v34
	s_waitcnt vmcnt(1)
	v_mul_f16_sdwa v117, v34, v96 dst_sel:DWORD dst_unused:UNUSED_PAD src0_sel:DWORD src1_sel:WORD_1
	v_lshrrev_b32_e32 v104, 16, v29
	v_mul_f16_sdwa v105, v29, v92 dst_sel:DWORD dst_unused:UNUSED_PAD src0_sel:DWORD src1_sel:WORD_1
	v_lshrrev_b32_e32 v106, 16, v30
	v_mul_f16_sdwa v107, v30, v93 dst_sel:DWORD dst_unused:UNUSED_PAD src0_sel:DWORD src1_sel:WORD_1
	s_waitcnt lgkmcnt(1)
	v_lshrrev_b32_e32 v112, 16, v25
	v_mul_f16_sdwa v113, v25, v94 dst_sel:DWORD dst_unused:UNUSED_PAD src0_sel:DWORD src1_sel:WORD_1
	v_lshrrev_b32_e32 v110, 16, v32
	v_mul_f16_sdwa v111, v32, v88 dst_sel:DWORD dst_unused:UNUSED_PAD src0_sel:DWORD src1_sel:WORD_1
	;; [unrolled: 2-line block ×3, first 2 shown]
	v_lshrrev_b32_e32 v118, 16, v33
	s_waitcnt vmcnt(0)
	v_mul_f16_sdwa v119, v33, v97 dst_sel:DWORD dst_unused:UNUSED_PAD src0_sel:DWORD src1_sel:WORD_1
	s_waitcnt lgkmcnt(0)
	v_lshrrev_b32_e32 v121, 16, v35
	v_fmac_f16_e32 v101, v100, v37
	v_lshrrev_b32_e32 v100, 16, v36
	v_fma_f16 v28, v28, v37, -v120
	v_mul_f16_sdwa v37, v36, v90 dst_sel:DWORD dst_unused:UNUSED_PAD src0_sel:DWORD src1_sel:WORD_1
	v_fmac_f16_e32 v109, v108, v38
	v_mul_f16_sdwa v108, v108, v38 dst_sel:DWORD dst_unused:UNUSED_PAD src0_sel:DWORD src1_sel:WORD_1
	v_fmac_f16_e32 v103, v102, v91
	;; [unrolled: 2-line block ×6, first 2 shown]
	v_mul_f16_sdwa v112, v112, v94 dst_sel:DWORD dst_unused:UNUSED_PAD src0_sel:DWORD src1_sel:WORD_1
	v_mul_f16_sdwa v122, v35, v89 dst_sel:DWORD dst_unused:UNUSED_PAD src0_sel:DWORD src1_sel:WORD_1
	v_fmac_f16_e32 v111, v110, v88
	v_mul_f16_sdwa v110, v110, v88 dst_sel:DWORD dst_unused:UNUSED_PAD src0_sel:DWORD src1_sel:WORD_1
	v_fmac_f16_e32 v115, v114, v95
	;; [unrolled: 2-line block ×3, first 2 shown]
	v_mul_f16_sdwa v118, v118, v97 dst_sel:DWORD dst_unused:UNUSED_PAD src0_sel:DWORD src1_sel:WORD_1
	v_mul_f16_sdwa v120, v121, v89 dst_sel:DWORD dst_unused:UNUSED_PAD src0_sel:DWORD src1_sel:WORD_1
	v_fmac_f16_e32 v37, v100, v90
	v_mul_f16_sdwa v100, v100, v90 dst_sel:DWORD dst_unused:UNUSED_PAD src0_sel:DWORD src1_sel:WORD_1
	v_fma_f16 v31, v31, v38, -v108
	v_fma_f16 v27, v27, v91, -v102
	;; [unrolled: 1-line block ×6, first 2 shown]
	v_fmac_f16_e32 v122, v121, v89
	v_fma_f16 v32, v32, v88, -v110
	v_fma_f16 v26, v26, v95, -v114
	;; [unrolled: 1-line block ×5, first 2 shown]
	v_pack_b32_f16 v28, v28, v101
	v_pack_b32_f16 v31, v31, v109
	;; [unrolled: 1-line block ×12, first 2 shown]
	ds_write2_b32 v98, v28, v31 offset0:120 offset1:176
	ds_write2_b32 v56, v34, v27 offset0:136 offset1:192
	;; [unrolled: 1-line block ×6, first 2 shown]
	ds_write_b32 v54, v36 offset:2912
	s_waitcnt lgkmcnt(0)
	s_barrier
	buffer_gl0_inv
	ds_read2_b32 v[27:28], v54 offset1:56
	ds_read2_b32 v[25:26], v56 offset0:80 offset1:136
	ds_read2_b32 v[33:34], v56 offset0:192 offset1:248
	;; [unrolled: 1-line block ×6, first 2 shown]
	s_waitcnt lgkmcnt(0)
	s_barrier
	buffer_gl0_inv
	v_pk_add_f16 v89, v27, v26 neg_lo:[0,1] neg_hi:[0,1]
	v_pk_add_f16 v91, v28, v33 neg_lo:[0,1] neg_hi:[0,1]
	;; [unrolled: 1-line block ×7, first 2 shown]
	v_pk_fma_f16 v88, v27, 2.0, v89 op_sel_hi:[1,0,1] neg_lo:[0,0,1] neg_hi:[0,0,1]
	v_pk_fma_f16 v90, v28, 2.0, v91 op_sel_hi:[1,0,1] neg_lo:[0,0,1] neg_hi:[0,0,1]
	;; [unrolled: 1-line block ×7, first 2 shown]
	ds_write2_b64 v84, v[88:89], v[90:91] offset1:56
	ds_write2_b64 v83, v[33:34], v[92:93] offset0:112 offset1:168
	ds_write2_b64 v85, v[35:36], v[94:95] offset0:96 offset1:152
	ds_write_b64 v83, v[25:26] offset:2688
	s_waitcnt lgkmcnt(0)
	s_barrier
	buffer_gl0_inv
	ds_read2_b32 v[31:32], v56 offset0:80 offset1:136
	ds_read2_b32 v[33:34], v56 offset0:192 offset1:248
	;; [unrolled: 1-line block ×4, first 2 shown]
	ds_read2_b32 v[83:84], v54 offset1:56
	ds_read2_b32 v[88:89], v54 offset0:112 offset1:168
	ds_read2_b32 v[90:91], v55 offset0:96 offset1:152
	s_waitcnt lgkmcnt(0)
	s_barrier
	buffer_gl0_inv
	v_mad_u64_u32 v[27:28], null, s2, v16, 0
	v_mad_u64_u32 v[25:26], null, s0, v58, 0
	;; [unrolled: 1-line block ×3, first 2 shown]
	s_mul_i32 s2, s1, 0xfffffac0
	s_add_i32 s51, s51, s2
	v_lshrrev_b32_e32 v85, 16, v32
	v_mul_f16_sdwa v92, v60, v32 dst_sel:DWORD dst_unused:UNUSED_PAD src0_sel:WORD_1 src1_sel:DWORD
	v_lshrrev_b32_e32 v93, 16, v33
	v_lshrrev_b32_e32 v95, 16, v34
	;; [unrolled: 1-line block ×6, first 2 shown]
	v_fma_f16 v92, v60, v85, -v92
	v_mul_f16_sdwa v85, v60, v85 dst_sel:DWORD dst_unused:UNUSED_PAD src0_sel:WORD_1 src1_sel:DWORD
	v_mul_f16_sdwa v94, v60, v33 dst_sel:DWORD dst_unused:UNUSED_PAD src0_sel:WORD_1 src1_sel:DWORD
	;; [unrolled: 1-line block ×12, first 2 shown]
	v_lshrrev_b32_e32 v105, 16, v83
	v_mul_f16_sdwa v116, v60, v100 dst_sel:DWORD dst_unused:UNUSED_PAD src0_sel:WORD_1 src1_sel:DWORD
	v_fmac_f16_e32 v85, v60, v32
	v_lshrrev_b32_e32 v106, 16, v84
	v_fma_f16 v93, v60, v93, -v94
	v_fmac_f16_e32 v112, v60, v33
	v_lshrrev_b32_e32 v107, 16, v88
	v_fma_f16 v94, v60, v95, -v96
	v_fmac_f16_e32 v113, v60, v34
	v_lshrrev_b32_e32 v108, 16, v89
	v_lshrrev_b32_e32 v109, 16, v90
	v_fma_f16 v95, v60, v97, -v98
	v_fma_f16 v96, v60, v99, -v102
	v_fmac_f16_e32 v114, v60, v35
	v_lshrrev_b32_e32 v111, 16, v31
	v_fma_f16 v98, v60, v101, -v104
	v_fmac_f16_e32 v115, v60, v36
	v_fmac_f16_e32 v117, v60, v38
	v_lshrrev_b32_e32 v110, 16, v91
	v_fma_f16 v97, v60, v100, -v103
	v_fmac_f16_e32 v116, v60, v37
	v_sub_f16_e32 v32, v105, v92
	v_sub_f16_e32 v60, v83, v85
	;; [unrolled: 1-line block ×13, first 2 shown]
	v_fma_f16 v85, v105, 2.0, -v32
	v_sub_f16_e32 v100, v91, v116
	v_pack_b32_f16 v32, v60, v32
	v_fma_f16 v60, v83, 2.0, -v60
	v_fma_f16 v93, v106, 2.0, -v33
	;; [unrolled: 1-line block ×13, first 2 shown]
	v_pack_b32_f16 v60, v60, v85
	v_pack_b32_f16 v33, v92, v33
	;; [unrolled: 1-line block ×13, first 2 shown]
	ds_write2_b32 v62, v60, v32 offset1:2
	ds_write2_b32 v63, v83, v33 offset1:2
	;; [unrolled: 1-line block ×7, first 2 shown]
	s_waitcnt lgkmcnt(0)
	s_barrier
	buffer_gl0_inv
	ds_read2_b32 v[31:32], v56 offset0:192 offset1:248
	ds_read2_b32 v[62:63], v56 offset0:80 offset1:136
	;; [unrolled: 1-line block ×4, first 2 shown]
	v_mad_u64_u32 v[64:65], null, s1, v58, v[26:27]
	ds_read2_b32 v[65:66], v54 offset1:56
	ds_read2_b32 v[67:68], v54 offset0:112 offset1:168
	ds_read2_b32 v[83:84], v55 offset0:96 offset1:152
	v_mad_u64_u32 v[37:38], null, s3, v16, v[28:29]
	s_waitcnt lgkmcnt(0)
	s_barrier
	buffer_gl0_inv
	v_lshrrev_b32_e32 v16, 16, v31
	v_mul_f16_sdwa v26, v61, v31 dst_sel:DWORD dst_unused:UNUSED_PAD src0_sel:WORD_1 src1_sel:DWORD
	v_lshrrev_b32_e32 v28, 16, v32
	v_mul_f16_sdwa v38, v61, v32 dst_sel:DWORD dst_unused:UNUSED_PAD src0_sel:WORD_1 src1_sel:DWORD
	v_lshrrev_b32_e32 v93, 16, v63
	v_lshrrev_b32_e32 v58, 16, v33
	;; [unrolled: 1-line block ×5, first 2 shown]
	v_mul_f16_sdwa v94, v61, v63 dst_sel:DWORD dst_unused:UNUSED_PAD src0_sel:WORD_1 src1_sel:DWORD
	v_mul_f16_sdwa v102, v61, v16 dst_sel:DWORD dst_unused:UNUSED_PAD src0_sel:WORD_1 src1_sel:DWORD
	v_fma_f16 v16, v61, v16, -v26
	v_fma_f16 v26, v61, v28, -v38
	v_mul_f16_sdwa v38, v61, v93 dst_sel:DWORD dst_unused:UNUSED_PAD src0_sel:WORD_1 src1_sel:DWORD
	v_mul_f16_sdwa v60, v61, v33 dst_sel:DWORD dst_unused:UNUSED_PAD src0_sel:WORD_1 src1_sel:DWORD
	;; [unrolled: 1-line block ×8, first 2 shown]
	v_lshrrev_b32_e32 v95, 16, v65
	v_mul_f16_sdwa v106, v61, v88 dst_sel:DWORD dst_unused:UNUSED_PAD src0_sel:WORD_1 src1_sel:DWORD
	v_mul_f16_sdwa v107, v61, v89 dst_sel:DWORD dst_unused:UNUSED_PAD src0_sel:WORD_1 src1_sel:DWORD
	v_fma_f16 v28, v61, v93, -v94
	v_fmac_f16_e32 v38, v61, v63
	v_lshrrev_b32_e32 v96, 16, v66
	v_fmac_f16_e32 v102, v61, v31
	v_lshrrev_b32_e32 v97, 16, v67
	v_lshrrev_b32_e32 v99, 16, v83
	v_fma_f16 v58, v61, v58, -v60
	v_fma_f16 v60, v61, v85, -v90
	v_fmac_f16_e32 v103, v61, v32
	v_lshrrev_b32_e32 v98, 16, v68
	v_fmac_f16_e32 v104, v61, v33
	v_lshrrev_b32_e32 v101, 16, v62
	v_fma_f16 v85, v61, v88, -v91
	v_fma_f16 v88, v61, v89, -v92
	v_fmac_f16_e32 v105, v61, v34
	v_lshrrev_b32_e32 v100, 16, v84
	v_fmac_f16_e32 v106, v61, v35
	v_fmac_f16_e32 v107, v61, v36
	v_sub_f16_e32 v28, v95, v28
	v_sub_f16_e32 v35, v65, v38
	v_sub_f16_e32 v16, v96, v16
	v_sub_f16_e32 v36, v66, v102
	v_sub_f16_e32 v26, v97, v26
	v_sub_f16_e32 v32, v99, v60
	v_sub_f16_e32 v60, v67, v103
	v_sub_f16_e32 v31, v98, v58
	v_sub_f16_e32 v63, v68, v104
	v_sub_f16_e32 v34, v101, v88
	v_sub_f16_e32 v88, v83, v105
	v_sub_f16_e32 v33, v100, v85
	v_fma_f16 v38, v95, 2.0, -v28
	v_sub_f16_e32 v90, v84, v106
	v_sub_f16_e32 v92, v62, v107
	v_pack_b32_f16 v28, v35, v28
	v_fma_f16 v35, v65, 2.0, -v35
	v_fma_f16 v58, v96, 2.0, -v16
	;; [unrolled: 1-line block ×4, first 2 shown]
	v_pack_b32_f16 v16, v36, v16
	v_fma_f16 v36, v67, 2.0, -v60
	v_fma_f16 v85, v98, 2.0, -v31
	v_pack_b32_f16 v26, v60, v26
	v_fma_f16 v60, v68, 2.0, -v63
	v_fma_f16 v89, v99, 2.0, -v32
	;; [unrolled: 3-line block ×3, first 2 shown]
	v_fma_f16 v93, v101, 2.0, -v34
	v_fma_f16 v66, v84, 2.0, -v90
	;; [unrolled: 1-line block ×3, first 2 shown]
	v_pack_b32_f16 v35, v35, v38
	v_pack_b32_f16 v38, v65, v58
	;; [unrolled: 1-line block ×10, first 2 shown]
	ds_write2_b32 v69, v35, v28 offset1:4
	ds_write2_b32 v70, v38, v16 offset1:4
	ds_write2_b32 v71, v36, v26 offset1:4
	ds_write2_b32 v72, v58, v31 offset1:4
	ds_write2_b32 v73, v60, v32 offset1:4
	ds_write2_b32 v74, v61, v33 offset1:4
	ds_write2_b32 v75, v62, v34 offset1:4
	s_waitcnt lgkmcnt(0)
	s_barrier
	buffer_gl0_inv
	ds_read2_b32 v[32:33], v56 offset0:80 offset1:136
	v_mov_b32_e32 v28, v37
	ds_read2_b32 v[34:35], v54 offset1:56
	ds_read2_b32 v[36:37], v56 offset0:192 offset1:248
	ds_read2_b32 v[60:61], v54 offset0:112 offset1:168
	;; [unrolled: 1-line block ×3, first 2 shown]
	v_mov_b32_e32 v26, v64
	ds_read2_b32 v[64:65], v53 offset0:160 offset1:216
	v_lshlrev_b64 v[27:28], 2, v[27:28]
	v_lshlrev_b64 v[25:26], 2, v[25:26]
	v_add_co_u32 v31, vcc_lo, s4, v27
	v_add_co_ci_u32_e32 v16, vcc_lo, s5, v28, vcc_lo
	ds_read2_b32 v[27:28], v55 offset0:96 offset1:152
	s_waitcnt lgkmcnt(0)
	s_barrier
	buffer_gl0_inv
	v_lshrrev_b32_e32 v38, 16, v33
	v_mul_f16_sdwa v58, v59, v33 dst_sel:DWORD dst_unused:UNUSED_PAD src0_sel:WORD_1 src1_sel:DWORD
	v_lshrrev_b32_e32 v67, 16, v36
	v_mul_f16_sdwa v68, v59, v36 dst_sel:DWORD dst_unused:UNUSED_PAD src0_sel:WORD_1 src1_sel:DWORD
	;; [unrolled: 2-line block ×3, first 2 shown]
	v_lshrrev_b32_e32 v73, 16, v62
	v_lshrrev_b32_e32 v74, 16, v63
	;; [unrolled: 1-line block ×4, first 2 shown]
	v_fma_f16 v58, v59, v38, -v58
	v_mul_f16_sdwa v38, v59, v38 dst_sel:DWORD dst_unused:UNUSED_PAD src0_sel:WORD_1 src1_sel:DWORD
	v_fma_f16 v68, v59, v67, -v68
	v_mul_f16_sdwa v67, v59, v67 dst_sel:DWORD dst_unused:UNUSED_PAD src0_sel:WORD_1 src1_sel:DWORD
	v_mul_f16_sdwa v94, v59, v70 dst_sel:DWORD dst_unused:UNUSED_PAD src0_sel:WORD_1 src1_sel:DWORD
	v_lshrrev_b32_e32 v66, 16, v34
	v_lshrrev_b32_e32 v69, 16, v35
	v_mul_f16_sdwa v75, v59, v62 dst_sel:DWORD dst_unused:UNUSED_PAD src0_sel:WORD_1 src1_sel:DWORD
	v_fma_f16 v70, v59, v70, -v71
	v_mul_f16_sdwa v71, v59, v73 dst_sel:DWORD dst_unused:UNUSED_PAD src0_sel:WORD_1 src1_sel:DWORD
	v_lshrrev_b32_e32 v72, 16, v60
	v_mul_f16_sdwa v83, v59, v63 dst_sel:DWORD dst_unused:UNUSED_PAD src0_sel:WORD_1 src1_sel:DWORD
	v_mul_f16_sdwa v89, v59, v65 dst_sel:DWORD dst_unused:UNUSED_PAD src0_sel:WORD_1 src1_sel:DWORD
	;; [unrolled: 1-line block ×6, first 2 shown]
	v_fmac_f16_e32 v38, v59, v33
	v_fmac_f16_e32 v67, v59, v36
	;; [unrolled: 1-line block ×3, first 2 shown]
	v_lshrrev_b32_e32 v90, 16, v61
	v_fma_f16 v73, v59, v73, -v75
	v_sub_f16_e32 v33, v66, v58
	v_sub_f16_e32 v36, v69, v68
	v_fmac_f16_e32 v71, v59, v62
	v_lshrrev_b32_e32 v91, 16, v27
	v_lshrrev_b32_e32 v93, 16, v32
	v_fma_f16 v74, v59, v74, -v83
	v_fma_f16 v83, v59, v85, -v89
	v_sub_f16_e32 v37, v72, v70
	v_fmac_f16_e32 v95, v59, v63
	v_fmac_f16_e32 v97, v59, v65
	v_lshrrev_b32_e32 v92, 16, v28
	v_fma_f16 v75, v59, v84, -v88
	v_fmac_f16_e32 v96, v59, v64
	v_sub_f16_e32 v38, v34, v38
	v_sub_f16_e32 v65, v35, v67
	;; [unrolled: 1-line block ×4, first 2 shown]
	v_fma_f16 v64, v66, 2.0, -v33
	v_fma_f16 v66, v69, 2.0, -v36
	v_sub_f16_e32 v69, v61, v71
	v_sub_f16_e32 v59, v91, v74
	;; [unrolled: 1-line block ×3, first 2 shown]
	v_fma_f16 v68, v72, 2.0, -v37
	v_sub_f16_e32 v70, v27, v95
	v_sub_f16_e32 v72, v32, v97
	v_sub_f16_e32 v62, v92, v75
	v_sub_f16_e32 v71, v28, v96
	v_fma_f16 v34, v34, 2.0, -v38
	v_fma_f16 v35, v35, 2.0, -v65
	v_pack_b32_f16 v33, v38, v33
	v_fma_f16 v38, v60, 2.0, -v67
	v_fma_f16 v73, v90, 2.0, -v58
	;; [unrolled: 1-line block ×9, first 2 shown]
	v_pack_b32_f16 v34, v34, v64
	v_pack_b32_f16 v36, v65, v36
	;; [unrolled: 1-line block ×13, first 2 shown]
	ds_write2_b32 v76, v34, v33 offset1:8
	ds_write2_b32 v77, v35, v36 offset1:8
	;; [unrolled: 1-line block ×7, first 2 shown]
	s_waitcnt lgkmcnt(0)
	s_barrier
	buffer_gl0_inv
	ds_read2_b32 v[32:33], v54 offset0:112 offset1:168
	ds_read2_b32 v[34:35], v55 offset0:96 offset1:152
	;; [unrolled: 1-line block ×4, first 2 shown]
	v_mad_u64_u32 v[60:61], null, s1, v57, v[30:31]
	ds_read2_b32 v[61:62], v53 offset0:48 offset1:104
	ds_read2_b32 v[63:64], v53 offset0:160 offset1:216
	ds_read2_b32 v[65:66], v54 offset1:56
	s_waitcnt lgkmcnt(0)
	s_barrier
	buffer_gl0_inv
	v_add_co_u32 v25, vcc_lo, v31, v25
	v_add_co_ci_u32_e32 v26, vcc_lo, v16, v26, vcc_lo
	v_add_co_u32 v27, vcc_lo, v25, s48
	v_add_co_ci_u32_e32 v28, vcc_lo, s50, v26, vcc_lo
	v_lshrrev_b32_e32 v30, 16, v32
	v_mul_f16_sdwa v38, v12, v32 dst_sel:DWORD dst_unused:UNUSED_PAD src0_sel:WORD_1 src1_sel:DWORD
	v_lshrrev_b32_e32 v57, 16, v34
	v_mul_f16_sdwa v67, v13, v34 dst_sel:DWORD dst_unused:UNUSED_PAD src0_sel:WORD_1 src1_sel:DWORD
	;; [unrolled: 2-line block ×12, first 2 shown]
	v_fma_f16 v38, v12, v30, -v38
	v_mul_f16_sdwa v30, v12, v30 dst_sel:DWORD dst_unused:UNUSED_PAD src0_sel:WORD_1 src1_sel:DWORD
	v_fma_f16 v67, v13, v57, -v67
	v_mul_f16_sdwa v57, v13, v57 dst_sel:DWORD dst_unused:UNUSED_PAD src0_sel:WORD_1 src1_sel:DWORD
	;; [unrolled: 2-line block ×4, first 2 shown]
	v_mul_f16_sdwa v90, v8, v72 dst_sel:DWORD dst_unused:UNUSED_PAD src0_sel:WORD_1 src1_sel:DWORD
	v_mul_f16_sdwa v91, v9, v74 dst_sel:DWORD dst_unused:UNUSED_PAD src0_sel:WORD_1 src1_sel:DWORD
	;; [unrolled: 1-line block ×4, first 2 shown]
	v_fma_f16 v72, v8, v72, -v73
	v_fma_f16 v73, v9, v74, -v75
	;; [unrolled: 1-line block ×5, first 2 shown]
	v_mul_f16_sdwa v77, v17, v80 dst_sel:DWORD dst_unused:UNUSED_PAD src0_sel:WORD_1 src1_sel:DWORD
	v_fma_f16 v78, v18, v82, -v83
	v_mul_f16_sdwa v79, v18, v82 dst_sel:DWORD dst_unused:UNUSED_PAD src0_sel:WORD_1 src1_sel:DWORD
	v_mul_f16_sdwa v81, v20, v88 dst_sel:DWORD dst_unused:UNUSED_PAD src0_sel:WORD_1 src1_sel:DWORD
	v_fma_f16 v82, v19, v84, -v85
	v_fma_f16 v83, v20, v88, -v89
	v_mul_f16_sdwa v80, v19, v84 dst_sel:DWORD dst_unused:UNUSED_PAD src0_sel:WORD_1 src1_sel:DWORD
	v_fmac_f16_e32 v30, v12, v32
	v_fmac_f16_e32 v57, v13, v34
	;; [unrolled: 1-line block ×11, first 2 shown]
	v_add_f16_e32 v8, v38, v78
	v_sub_f16_e32 v9, v38, v78
	v_add_f16_e32 v10, v67, v76
	v_sub_f16_e32 v11, v67, v76
	;; [unrolled: 2-line block ×5, first 2 shown]
	v_sub_f16_e32 v20, v75, v74
	v_fmac_f16_e32 v80, v19, v62
	v_add_f16_e32 v19, v74, v75
	v_add_f16_e32 v32, v30, v79
	v_add_f16_e32 v33, v57, v77
	v_sub_f16_e32 v34, v57, v77
	v_add_f16_e32 v35, v68, v70
	v_sub_f16_e32 v36, v70, v68
	v_add_f16_e32 v62, v10, v8
	v_sub_f16_e32 v63, v10, v8
	v_sub_f16_e32 v8, v8, v12
	;; [unrolled: 1-line block ×3, first 2 shown]
	v_add_f16_e32 v64, v13, v11
	v_sub_f16_e32 v67, v13, v11
	v_sub_f16_e32 v11, v11, v9
	v_add_f16_e32 v68, v17, v14
	v_add_f16_e32 v70, v20, v18
	v_sub_f16_e32 v71, v20, v18
	v_sub_f16_e32 v18, v18, v15
	;; [unrolled: 1-line block ×3, first 2 shown]
	v_add_f16_e32 v37, v90, v81
	v_add_f16_e32 v57, v91, v80
	v_sub_f16_e32 v69, v17, v14
	v_sub_f16_e32 v14, v14, v19
	;; [unrolled: 1-line block ×5, first 2 shown]
	v_add_f16_e32 v12, v12, v62
	v_add_f16_e32 v19, v19, v68
	;; [unrolled: 1-line block ×5, first 2 shown]
	v_sub_f16_e32 v70, v36, v34
	v_mul_f16_e32 v8, 0x3a52, v8
	v_mul_f16_e32 v72, 0x2b26, v10
	;; [unrolled: 1-line block ×6, first 2 shown]
	v_sub_f16_e32 v58, v91, v80
	v_add_f16_e32 v59, v92, v93
	v_sub_f16_e32 v61, v93, v92
	v_add_f16_e32 v9, v64, v9
	v_sub_f16_e32 v64, v33, v32
	v_sub_f16_e32 v32, v32, v35
	;; [unrolled: 1-line block ×4, first 2 shown]
	v_add_f16_e32 v74, v57, v37
	v_mul_f16_e32 v14, 0x3a52, v14
	v_mul_f16_e32 v78, 0x2b26, v17
	v_sub_f16_e32 v38, v90, v81
	v_sub_f16_e32 v36, v30, v36
	v_add_f16_e32 v35, v35, v62
	v_add_f16_e32 v30, v68, v30
	v_fmamk_f16 v10, v10, 0x2b26, v8
	v_fma_f16 v62, v63, 0x39e0, -v72
	v_fma_f16 v8, v63, 0xb9e0, -v8
	;; [unrolled: 1-line block ×3, first 2 shown]
	v_fmamk_f16 v63, v13, 0xb574, v67
	v_fmac_f16_e32 v73, 0x3574, v13
	v_fma_f16 v18, v18, 0xbb00, -v71
	v_fmamk_f16 v67, v20, 0xb574, v71
	v_fmac_f16_e32 v79, 0x3574, v20
	v_mul_f16_e32 v68, 0x3846, v70
	v_add_f16_sdwa v70, v65, v12 dst_sel:DWORD dst_unused:UNUSED_PAD src0_sel:WORD_1 src1_sel:DWORD
	v_add_f16_sdwa v71, v66, v19 dst_sel:DWORD dst_unused:UNUSED_PAD src0_sel:WORD_1 src1_sel:DWORD
	v_sub_f16_e32 v75, v57, v37
	v_sub_f16_e32 v37, v37, v59
	;; [unrolled: 1-line block ×4, first 2 shown]
	v_add_f16_e32 v13, v59, v74
	v_fmamk_f16 v17, v17, 0x2b26, v14
	v_fma_f16 v59, v69, 0x39e0, -v78
	v_fma_f16 v14, v69, 0xb9e0, -v14
	v_mul_f16_e32 v20, 0x3a52, v32
	v_mul_f16_e32 v32, 0x2b26, v33
	;; [unrolled: 1-line block ×3, first 2 shown]
	v_add_f16_e32 v76, v61, v58
	v_sub_f16_e32 v58, v58, v38
	v_fmac_f16_e32 v63, 0xb70e, v9
	v_fmac_f16_e32 v11, 0xb70e, v9
	;; [unrolled: 1-line block ×3, first 2 shown]
	v_add_f16_e32 v9, v65, v35
	v_fmamk_f16 v12, v12, 0xbcab, v70
	v_fmac_f16_e32 v67, 0xb70e, v15
	v_fmac_f16_e32 v18, 0xb70e, v15
	;; [unrolled: 1-line block ×3, first 2 shown]
	v_fmamk_f16 v15, v19, 0xbcab, v71
	v_sub_f16_e32 v61, v38, v61
	v_mul_f16_e32 v37, 0x3a52, v37
	v_mul_f16_e32 v74, 0x3846, v77
	v_fmamk_f16 v33, v33, 0x2b26, v20
	v_fma_f16 v32, v64, 0x39e0, -v32
	v_fma_f16 v20, v64, 0xb9e0, -v20
	v_fmamk_f16 v64, v36, 0xb574, v68
	v_fmac_f16_e32 v69, 0x3574, v36
	v_add_f16_e32 v36, v66, v13
	v_add_f16_e32 v38, v76, v38
	v_mul_f16_e32 v72, 0x2b26, v57
	v_mul_f16_e32 v76, 0x3b00, v58
	v_add_f16_e32 v10, v10, v12
	v_add_f16_e32 v19, v62, v12
	;; [unrolled: 1-line block ×6, first 2 shown]
	v_fmamk_f16 v15, v35, 0xbcab, v9
	v_fma_f16 v34, v34, 0xbb00, -v68
	v_fmamk_f16 v57, v57, 0x2b26, v37
	v_fma_f16 v58, v58, 0xbb00, -v74
	v_fmamk_f16 v66, v61, 0xb574, v74
	v_fmamk_f16 v13, v13, 0xbcab, v36
	v_fma_f16 v65, v75, 0x39e0, -v72
	v_fma_f16 v37, v75, 0xb9e0, -v37
	v_fmac_f16_e32 v76, 0x3574, v61
	v_fmac_f16_e32 v64, 0xb70e, v30
	v_add_f16_e32 v33, v33, v15
	v_fmac_f16_e32 v34, 0xb70e, v30
	v_fmac_f16_e32 v69, 0xb70e, v30
	v_add_f16_e32 v32, v32, v15
	v_add_f16_e32 v15, v20, v15
	v_fmac_f16_e32 v66, 0xb70e, v38
	v_fmac_f16_e32 v58, 0xb70e, v38
	v_pack_b32_f16 v30, v36, v71
	v_add_f16_e32 v36, v57, v13
	v_fmac_f16_e32 v76, 0xb70e, v38
	v_sub_f16_e32 v35, v10, v64
	v_add_f16_e32 v38, v65, v13
	v_add_f16_e32 v13, v37, v13
	;; [unrolled: 1-line block ×4, first 2 shown]
	v_sub_f16_e32 v19, v19, v34
	v_sub_f16_e32 v34, v8, v69
	;; [unrolled: 1-line block ×3, first 2 shown]
	v_add_f16_e32 v11, v11, v32
	v_add_f16_e32 v32, v73, v15
	;; [unrolled: 1-line block ×3, first 2 shown]
	v_sub_f16_e32 v15, v15, v73
	v_add_f16_e32 v10, v64, v10
	v_sub_f16_e32 v33, v33, v63
	v_add_f16_e32 v37, v58, v17
	v_sub_f16_e32 v17, v17, v58
	v_sub_f16_e32 v58, v12, v66
	v_add_f16_e32 v63, v67, v36
	v_pack_b32_f16 v9, v9, v70
	v_sub_f16_e32 v57, v14, v76
	v_add_f16_e32 v14, v76, v14
	v_add_f16_e32 v12, v66, v12
	v_sub_f16_e32 v62, v38, v18
	v_add_f16_e32 v18, v18, v38
	v_add_f16_e32 v38, v79, v13
	v_sub_f16_e32 v13, v13, v79
	v_sub_f16_e32 v36, v36, v67
	v_pack_b32_f16 v35, v61, v35
	v_pack_b32_f16 v32, v32, v34
	;; [unrolled: 1-line block ×12, first 2 shown]
	ds_write2_b32 v87, v9, v35 offset1:16
	ds_write2_b32 v87, v32, v20 offset0:32 offset1:48
	ds_write2_b32 v87, v11, v8 offset0:64 offset1:80
	ds_write_b32 v87, v10 offset:384
	ds_write2_b32 v86, v30, v15 offset1:16
	ds_write2_b32 v86, v19, v33 offset0:32 offset1:48
	ds_write2_b32 v86, v17, v13 offset0:64 offset1:80
	ds_write_b32 v86, v12 offset:384
	v_mov_b32_e32 v30, v60
	s_waitcnt lgkmcnt(0)
	s_barrier
	buffer_gl0_inv
	ds_read2_b32 v[12:13], v54 offset0:112 offset1:168
	ds_read2_b32 v[17:18], v55 offset0:96 offset1:152
	ds_read2_b32 v[19:20], v56 offset0:80 offset1:136
	ds_read2_b32 v[32:33], v56 offset0:192 offset1:248
	ds_read2_b32 v[34:35], v53 offset0:48 offset1:104
	v_lshlrev_b64 v[14:15], 2, v[29:30]
	ds_read2_b32 v[29:30], v53 offset0:160 offset1:216
	ds_read2_b32 v[36:37], v54 offset1:56
	v_add_co_u32 v8, vcc_lo, v27, s49
	v_add_co_ci_u32_e32 v9, vcc_lo, s51, v28, vcc_lo
	v_mad_u64_u32 v[10:11], null, 0xe0, s0, v[8:9]
	s_waitcnt lgkmcnt(6)
	v_lshrrev_b32_e32 v38, 16, v12
	s_waitcnt lgkmcnt(5)
	v_lshrrev_b32_e32 v57, 16, v17
	;; [unrolled: 2-line block ×4, first 2 shown]
	v_lshrrev_b32_e32 v60, 16, v13
	v_mul_f16_sdwa v61, v0, v12 dst_sel:DWORD dst_unused:UNUSED_PAD src0_sel:WORD_1 src1_sel:DWORD
	v_mul_f16_sdwa v62, v1, v17 dst_sel:DWORD dst_unused:UNUSED_PAD src0_sel:WORD_1 src1_sel:DWORD
	;; [unrolled: 1-line block ×4, first 2 shown]
	v_lshrrev_b32_e32 v65, 16, v18
	v_lshrrev_b32_e32 v66, 16, v20
	;; [unrolled: 1-line block ×3, first 2 shown]
	v_mul_f16_sdwa v68, v4, v13 dst_sel:DWORD dst_unused:UNUSED_PAD src0_sel:WORD_1 src1_sel:DWORD
	v_mul_f16_sdwa v69, v5, v18 dst_sel:DWORD dst_unused:UNUSED_PAD src0_sel:WORD_1 src1_sel:DWORD
	;; [unrolled: 1-line block ×3, first 2 shown]
	s_waitcnt lgkmcnt(2)
	v_lshrrev_b32_e32 v71, 16, v34
	v_mul_f16_sdwa v72, v7, v33 dst_sel:DWORD dst_unused:UNUSED_PAD src0_sel:WORD_1 src1_sel:DWORD
	s_waitcnt lgkmcnt(1)
	v_lshrrev_b32_e32 v73, 16, v29
	v_lshrrev_b32_e32 v74, 16, v35
	;; [unrolled: 1-line block ×3, first 2 shown]
	v_mul_f16_sdwa v76, v23, v34 dst_sel:DWORD dst_unused:UNUSED_PAD src0_sel:WORD_1 src1_sel:DWORD
	v_mul_f16_sdwa v77, v24, v29 dst_sel:DWORD dst_unused:UNUSED_PAD src0_sel:WORD_1 src1_sel:DWORD
	;; [unrolled: 1-line block ×5, first 2 shown]
	v_fma_f16 v38, v0, v38, -v61
	v_mul_f16_sdwa v61, v1, v57 dst_sel:DWORD dst_unused:UNUSED_PAD src0_sel:WORD_1 src1_sel:DWORD
	v_fma_f16 v57, v1, v57, -v62
	v_mul_f16_sdwa v62, v2, v58 dst_sel:DWORD dst_unused:UNUSED_PAD src0_sel:WORD_1 src1_sel:DWORD
	;; [unrolled: 2-line block ×4, first 2 shown]
	v_mul_f16_sdwa v81, v5, v65 dst_sel:DWORD dst_unused:UNUSED_PAD src0_sel:WORD_1 src1_sel:DWORD
	v_mul_f16_sdwa v82, v6, v66 dst_sel:DWORD dst_unused:UNUSED_PAD src0_sel:WORD_1 src1_sel:DWORD
	;; [unrolled: 1-line block ×3, first 2 shown]
	v_fma_f16 v60, v4, v60, -v68
	v_fma_f16 v65, v5, v65, -v69
	;; [unrolled: 1-line block ×4, first 2 shown]
	v_mul_f16_sdwa v68, v23, v71 dst_sel:DWORD dst_unused:UNUSED_PAD src0_sel:WORD_1 src1_sel:DWORD
	v_fma_f16 v69, v23, v71, -v76
	v_mul_f16_sdwa v70, v24, v73 dst_sel:DWORD dst_unused:UNUSED_PAD src0_sel:WORD_1 src1_sel:DWORD
	v_fma_f16 v71, v24, v73, -v77
	;; [unrolled: 2-line block ×4, first 2 shown]
	v_fmac_f16_e32 v80, v0, v12
	v_fmac_f16_e32 v61, v1, v17
	;; [unrolled: 1-line block ×11, first 2 shown]
	v_add_f16_e32 v0, v38, v71
	v_sub_f16_e32 v1, v38, v71
	v_add_f16_e32 v2, v57, v69
	v_sub_f16_e32 v3, v57, v69
	;; [unrolled: 2-line block ×6, first 2 shown]
	v_fmac_f16_e32 v74, v22, v30
	v_add_f16_e32 v19, v80, v70
	v_add_f16_e32 v21, v61, v68
	v_sub_f16_e32 v22, v61, v68
	v_add_f16_e32 v23, v62, v63
	v_sub_f16_e32 v24, v63, v62
	;; [unrolled: 2-line block ×3, first 2 shown]
	v_sub_f16_e32 v0, v0, v4
	v_sub_f16_e32 v2, v4, v2
	v_add_f16_e32 v32, v5, v3
	v_sub_f16_e32 v33, v5, v3
	v_sub_f16_e32 v3, v3, v1
	;; [unrolled: 1-line block ×4, first 2 shown]
	v_add_f16_e32 v60, v12, v6
	v_sub_f16_e32 v61, v12, v6
	v_sub_f16_e32 v6, v6, v17
	;; [unrolled: 1-line block ×3, first 2 shown]
	v_add_f16_e32 v62, v18, v13
	v_sub_f16_e32 v63, v18, v13
	v_sub_f16_e32 v13, v13, v7
	;; [unrolled: 1-line block ×3, first 2 shown]
	v_add_f16_e32 v34, v64, v74
	v_add_f16_e32 v38, v81, v72
	v_sub_f16_e32 v5, v1, v5
	v_sub_f16_e32 v35, v64, v74
	;; [unrolled: 1-line block ×3, first 2 shown]
	v_add_f16_e32 v64, v21, v19
	v_add_f16_e32 v4, v4, v29
	v_add_f16_e32 v29, v24, v22
	v_mul_f16_e32 v0, 0x3a52, v0
	v_add_f16_e32 v17, v17, v60
	v_mul_f16_e32 v60, 0x2b26, v2
	v_mul_f16_e32 v33, 0x3846, v33
	v_add_f16_e32 v7, v62, v7
	v_mul_f16_e32 v62, 0x3b00, v3
	v_add_f16_e32 v68, v59, v57
	v_mul_f16_e32 v6, 0x3a52, v6
	v_mul_f16_e32 v70, 0x2b26, v12
	;; [unrolled: 1-line block ×4, first 2 shown]
	v_add_f16_e32 v58, v82, v83
	v_sub_f16_e32 v65, v21, v19
	v_sub_f16_e32 v19, v19, v23
	;; [unrolled: 1-line block ×3, first 2 shown]
	v_add_f16_e32 v1, v32, v1
	v_sub_f16_e32 v32, v24, v22
	v_sub_f16_e32 v22, v22, v20
	v_add_f16_e32 v66, v38, v34
	v_sub_f16_e32 v24, v20, v24
	v_sub_f16_e32 v69, v59, v57
	;; [unrolled: 1-line block ×4, first 2 shown]
	v_add_f16_e32 v23, v23, v64
	v_add_f16_e32 v20, v29, v20
	v_fmamk_f16 v2, v2, 0x2b26, v0
	v_fma_f16 v29, v30, 0x39e0, -v60
	v_fma_f16 v0, v30, 0xb9e0, -v0
	v_fma_f16 v3, v3, 0xbb00, -v33
	v_fmamk_f16 v30, v5, 0xb574, v33
	v_fmac_f16_e32 v62, 0x3574, v5
	v_add_f16_e32 v33, v68, v35
	v_fmamk_f16 v12, v12, 0x2b26, v6
	v_fma_f16 v35, v61, 0x39e0, -v70
	v_fma_f16 v6, v61, 0xb9e0, -v6
	v_fma_f16 v13, v13, 0xbb00, -v63
	v_fmamk_f16 v60, v18, 0xb574, v63
	v_fmac_f16_e32 v71, 0x3574, v18
	s_waitcnt lgkmcnt(0)
	v_add_f16_sdwa v61, v36, v4 dst_sel:DWORD dst_unused:UNUSED_PAD src0_sel:WORD_1 src1_sel:DWORD
	v_add_f16_sdwa v63, v37, v17 dst_sel:DWORD dst_unused:UNUSED_PAD src0_sel:WORD_1 src1_sel:DWORD
	v_sub_f16_e32 v67, v38, v34
	v_sub_f16_e32 v34, v34, v58
	;; [unrolled: 1-line block ×3, first 2 shown]
	v_add_f16_e32 v5, v58, v66
	v_mul_f16_e32 v19, 0x3a52, v19
	v_mul_f16_e32 v58, 0x2b26, v21
	;; [unrolled: 1-line block ×4, first 2 shown]
	v_fmac_f16_e32 v30, 0xb70e, v1
	v_fmac_f16_e32 v3, 0xb70e, v1
	v_fmac_f16_e32 v62, 0xb70e, v1
	v_add_f16_e32 v1, v36, v23
	v_fmamk_f16 v4, v4, 0xbcab, v61
	v_fmac_f16_e32 v60, 0xb70e, v7
	v_fmac_f16_e32 v13, 0xb70e, v7
	;; [unrolled: 1-line block ×3, first 2 shown]
	v_fmamk_f16 v7, v17, 0xbcab, v63
	v_mul_f16_e32 v64, 0x2b26, v38
	v_mul_f16_e32 v66, 0x3846, v69
	v_fmamk_f16 v21, v21, 0x2b26, v19
	v_fma_f16 v58, v65, 0x39e0, -v58
	v_fma_f16 v19, v65, 0xb9e0, -v19
	v_fmamk_f16 v65, v24, 0xb574, v32
	v_fmac_f16_e32 v18, 0x3574, v24
	v_add_f16_e32 v24, v37, v5
	v_mul_f16_e32 v34, 0x3a52, v34
	v_mul_f16_e32 v68, 0x3b00, v57
	v_fma_f16 v22, v22, 0xbb00, -v32
	v_add_f16_e32 v2, v2, v4
	v_add_f16_e32 v17, v29, v4
	;; [unrolled: 1-line block ×6, first 2 shown]
	v_fmamk_f16 v7, v23, 0xbcab, v1
	v_fma_f16 v36, v67, 0x39e0, -v64
	v_fma_f16 v37, v57, 0xbb00, -v66
	v_fmamk_f16 v5, v5, 0xbcab, v24
	v_fmamk_f16 v32, v38, 0x2b26, v34
	v_fma_f16 v34, v67, 0xb9e0, -v34
	v_fmamk_f16 v38, v59, 0xb574, v66
	v_fmac_f16_e32 v68, 0x3574, v59
	v_fmac_f16_e32 v65, 0xb70e, v20
	;; [unrolled: 1-line block ×4, first 2 shown]
	v_add_f16_e32 v21, v21, v7
	v_add_f16_e32 v23, v58, v7
	;; [unrolled: 1-line block ×3, first 2 shown]
	v_fmac_f16_e32 v37, 0xb70e, v33
	v_add_f16_e32 v29, v36, v5
	v_fmac_f16_e32 v38, 0xb70e, v33
	v_fmac_f16_e32 v68, 0xb70e, v33
	v_pack_b32_f16 v20, v24, v63
	v_add_f16_e32 v19, v22, v17
	v_sub_f16_e32 v17, v17, v22
	v_sub_f16_e32 v22, v0, v18
	v_add_f16_e32 v0, v18, v0
	v_sub_f16_e32 v18, v2, v65
	v_add_f16_e32 v24, v32, v5
	v_add_f16_e32 v5, v34, v5
	;; [unrolled: 1-line block ×3, first 2 shown]
	v_sub_f16_e32 v36, v23, v3
	v_add_f16_e32 v3, v3, v23
	v_add_f16_e32 v23, v62, v7
	v_add_f16_e32 v2, v65, v2
	v_add_f16_e32 v33, v37, v12
	v_sub_f16_e32 v12, v12, v37
	v_sub_f16_e32 v7, v7, v62
	;; [unrolled: 1-line block ×4, first 2 shown]
	v_add_f16_e32 v13, v13, v29
	v_sub_f16_e32 v32, v4, v38
	v_sub_f16_e32 v34, v6, v68
	v_add_f16_e32 v6, v68, v6
	v_add_f16_e32 v4, v38, v4
	;; [unrolled: 1-line block ×4, first 2 shown]
	v_sub_f16_e32 v5, v5, v71
	v_sub_f16_e32 v24, v24, v60
	v_pack_b32_f16 v18, v35, v18
	v_pack_b32_f16 v22, v23, v22
	;; [unrolled: 1-line block ×13, first 2 shown]
	ds_write_b32 v54, v18 offset:448
	ds_write_b32 v54, v22 offset:896
	;; [unrolled: 1-line block ×6, first 2 shown]
	ds_write2_b32 v54, v1, v20 offset1:56
	ds_write_b32 v54, v7 offset:672
	ds_write_b32 v54, v17 offset:1120
	;; [unrolled: 1-line block ×6, first 2 shown]
	s_waitcnt lgkmcnt(0)
	s_barrier
	buffer_gl0_inv
	ds_read2_b32 v[12:13], v54 offset1:56
	ds_read2_b32 v[2:3], v56 offset0:80 offset1:136
	ds_read2_b32 v[6:7], v56 offset0:192 offset1:248
	ds_read2_b32 v[4:5], v54 offset0:112 offset1:168
	v_add_co_u32 v0, vcc_lo, v31, v14
	v_add_co_ci_u32_e32 v1, vcc_lo, v16, v15, vcc_lo
	v_add_co_u32 v20, vcc_lo, v10, s48
	s_waitcnt lgkmcnt(3)
	v_mad_u64_u32 v[17:18], null, 0xe0, s1, v[11:12]
	s_waitcnt lgkmcnt(2)
	v_lshrrev_b32_e32 v30, 16, v3
	v_mul_f16_sdwa v31, v41, v3 dst_sel:DWORD dst_unused:UNUSED_PAD src0_sel:WORD_1 src1_sel:DWORD
	v_lshrrev_b32_e32 v32, 16, v13
	v_mul_f16_sdwa v33, v46, v13 dst_sel:DWORD dst_unused:UNUSED_PAD src0_sel:WORD_1 src1_sel:DWORD
	s_waitcnt lgkmcnt(1)
	v_lshrrev_b32_e32 v34, 16, v6
	v_mul_f16_sdwa v35, v42, v6 dst_sel:DWORD dst_unused:UNUSED_PAD src0_sel:WORD_1 src1_sel:DWORD
	v_mov_b32_e32 v11, v17
	ds_read2_b32 v[16:17], v53 offset0:48 offset1:104
	ds_read2_b32 v[14:15], v55 offset0:96 offset1:152
	ds_read2_b32 v[18:19], v53 offset0:160 offset1:216
	s_waitcnt lgkmcnt(3)
	v_lshrrev_b32_e32 v36, 16, v4
	v_lshrrev_b32_e32 v38, 16, v7
	v_mul_f16_sdwa v53, v44, v7 dst_sel:DWORD dst_unused:UNUSED_PAD src0_sel:WORD_1 src1_sel:DWORD
	v_lshrrev_b32_e32 v54, 16, v5
	v_fma_f16 v31, v41, v30, -v31
	v_fma_f16 v33, v46, v32, -v33
	v_lshrrev_b32_e32 v22, 16, v12
	v_mul_f16_sdwa v37, v45, v4 dst_sel:DWORD dst_unused:UNUSED_PAD src0_sel:WORD_1 src1_sel:DWORD
	v_fma_f16 v35, v42, v34, -v35
	v_mul_f16_sdwa v68, v42, v34 dst_sel:DWORD dst_unused:UNUSED_PAD src0_sel:WORD_1 src1_sel:DWORD
	v_mul_f16_sdwa v69, v45, v36 dst_sel:DWORD dst_unused:UNUSED_PAD src0_sel:WORD_1 src1_sel:DWORD
	;; [unrolled: 1-line block ×3, first 2 shown]
	v_fma_f16 v34, v44, v38, -v53
	v_mul_f16_sdwa v38, v47, v54 dst_sel:DWORD dst_unused:UNUSED_PAD src0_sel:WORD_1 src1_sel:DWORD
	v_cvt_f32_f16_e32 v31, v31
	v_cvt_f32_f16_e32 v33, v33
	v_mul_f16_sdwa v55, v47, v5 dst_sel:DWORD dst_unused:UNUSED_PAD src0_sel:WORD_1 src1_sel:DWORD
	v_mul_f16_sdwa v66, v43, v22 dst_sel:DWORD dst_unused:UNUSED_PAD src0_sel:WORD_1 src1_sel:DWORD
	s_waitcnt lgkmcnt(1)
	v_lshrrev_b32_e32 v58, 16, v14
	v_mul_f16_sdwa v59, v49, v14 dst_sel:DWORD dst_unused:UNUSED_PAD src0_sel:WORD_1 src1_sel:DWORD
	v_lshrrev_b32_e32 v62, 16, v15
	v_mul_f16_sdwa v67, v46, v32 dst_sel:DWORD dst_unused:UNUSED_PAD src0_sel:WORD_1 src1_sel:DWORD
	v_fma_f16 v32, v45, v36, -v37
	v_cvt_f32_f16_e32 v35, v35
	v_fmac_f16_e32 v68, v42, v6
	v_fmac_f16_e32 v69, v45, v4
	v_fmac_f16_e32 v72, v44, v7
	v_fmac_f16_e32 v38, v47, v5
	v_cvt_f64_f32_e32 v[4:5], v31
	v_cvt_f64_f32_e32 v[6:7], v33
	v_mul_f16_sdwa v23, v43, v12 dst_sel:DWORD dst_unused:UNUSED_PAD src0_sel:WORD_1 src1_sel:DWORD
	v_lshrrev_b32_e32 v56, 16, v16
	v_mul_f16_sdwa v57, v48, v16 dst_sel:DWORD dst_unused:UNUSED_PAD src0_sel:WORD_1 src1_sel:DWORD
	v_lshrrev_b32_e32 v60, 16, v17
	v_fma_f16 v36, v47, v54, -v55
	v_fma_f16 v54, v49, v58, -v59
	v_mul_f16_sdwa v55, v49, v58 dst_sel:DWORD dst_unused:UNUSED_PAD src0_sel:WORD_1 src1_sel:DWORD
	v_mul_f16_sdwa v59, v50, v62 dst_sel:DWORD dst_unused:UNUSED_PAD src0_sel:WORD_1 src1_sel:DWORD
	v_fmac_f16_e32 v66, v43, v12
	v_fmac_f16_e32 v67, v46, v13
	v_cvt_f32_f16_e32 v32, v32
	v_cvt_f64_f32_e32 v[12:13], v35
	v_mul_f16_sdwa v61, v51, v17 dst_sel:DWORD dst_unused:UNUSED_PAD src0_sel:WORD_1 src1_sel:DWORD
	v_mul_f16_sdwa v63, v50, v15 dst_sel:DWORD dst_unused:UNUSED_PAD src0_sel:WORD_1 src1_sel:DWORD
	s_waitcnt lgkmcnt(0)
	v_lshrrev_b32_e32 v64, 16, v18
	v_mul_f16_sdwa v65, v52, v18 dst_sel:DWORD dst_unused:UNUSED_PAD src0_sel:WORD_1 src1_sel:DWORD
	v_fma_f16 v37, v48, v56, -v57
	v_mul_f16_sdwa v53, v48, v56 dst_sel:DWORD dst_unused:UNUSED_PAD src0_sel:WORD_1 src1_sel:DWORD
	v_mul_f16_sdwa v57, v51, v60 dst_sel:DWORD dst_unused:UNUSED_PAD src0_sel:WORD_1 src1_sel:DWORD
	v_cvt_f32_f16_e32 v34, v34
	v_fmac_f16_e32 v55, v49, v14
	v_fmac_f16_e32 v59, v50, v15
	v_cvt_f64_f32_e32 v[14:15], v32
	v_fma_f16 v56, v51, v60, -v61
	v_mul_f16_sdwa v60, v41, v30 dst_sel:DWORD dst_unused:UNUSED_PAD src0_sel:WORD_1 src1_sel:DWORD
	v_fma_f16 v30, v52, v64, -v65
	v_cvt_f32_f16_e32 v36, v36
	v_fmac_f16_e32 v53, v48, v16
	v_fmac_f16_e32 v57, v51, v17
	v_cvt_f64_f32_e32 v[16:17], v34
	v_lshrrev_b32_e32 v24, 16, v2
	v_fma_f16 v23, v43, v22, -v23
	v_cvt_f32_f16_e32 v37, v37
	v_cvt_f32_f16_e32 v42, v54
	;; [unrolled: 1-line block ×3, first 2 shown]
	v_cvt_f64_f32_e32 v[30:31], v36
	v_mul_f64 v[4:5], v[4:5], s[46:47]
	v_mul_f64 v[6:7], v[6:7], s[46:47]
	v_fma_f16 v58, v50, v62, -v63
	v_mul_f16_sdwa v22, v40, v24 dst_sel:DWORD dst_unused:UNUSED_PAD src0_sel:WORD_1 src1_sel:DWORD
	v_cvt_f32_f16_e32 v23, v23
	v_fmac_f16_e32 v60, v41, v3
	v_cvt_f64_f32_e32 v[32:33], v37
	v_mul_f64 v[12:13], v[12:13], s[46:47]
	v_mul_f16_sdwa v29, v40, v2 dst_sel:DWORD dst_unused:UNUSED_PAD src0_sel:WORD_1 src1_sel:DWORD
	v_cvt_f32_f16_e32 v43, v56
	v_cvt_f32_f16_e32 v46, v58
	v_fmac_f16_e32 v22, v40, v2
	v_cvt_f64_f32_e32 v[2:3], v23
	v_cvt_f64_f32_e32 v[34:35], v42
	v_cvt_f32_f16_e32 v23, v60
	v_cvt_f32_f16_e32 v49, v68
	v_mul_f64 v[14:15], v[14:15], s[46:47]
	v_mul_f16_sdwa v61, v52, v64 dst_sel:DWORD dst_unused:UNUSED_PAD src0_sel:WORD_1 src1_sel:DWORD
	v_cvt_f64_f32_e32 v[36:37], v43
	v_cvt_f64_f32_e32 v[41:42], v46
	;; [unrolled: 1-line block ×4, first 2 shown]
	v_cvt_f32_f16_e32 v47, v67
	v_mul_f64 v[16:17], v[16:17], s[46:47]
	v_fmac_f16_e32 v61, v52, v18
	v_cvt_f32_f16_e32 v18, v66
	v_cvt_f32_f16_e32 v62, v57
	;; [unrolled: 1-line block ×3, first 2 shown]
	v_cvt_f64_f32_e32 v[47:48], v47
	v_mul_f64 v[30:31], v[30:31], s[46:47]
	v_and_or_b32 v92, 0x1ff, v5, v4
	v_and_or_b32 v4, 0x1ff, v7, v6
	v_cvt_f32_f16_e32 v65, v61
	v_cvt_f64_f32_e32 v[43:44], v18
	v_cvt_f64_f32_e32 v[61:62], v62
	;; [unrolled: 1-line block ×3, first 2 shown]
	v_cvt_f32_f16_e32 v54, v72
	v_cvt_f32_f16_e32 v60, v55
	v_cvt_f64_f32_e32 v[57:58], v58
	v_mul_f64 v[72:73], v[32:33], s[46:47]
	v_add_co_ci_u32_e32 v21, vcc_lo, s50, v11, vcc_lo
	v_and_or_b32 v12, 0x1ff, v13, v12
	v_cmp_ne_u32_e32 vcc_lo, 0, v4
	v_cvt_f32_f16_e32 v63, v59
	v_cvt_f64_f32_e32 v[59:60], v60
	v_mul_f64 v[74:75], v[34:35], s[46:47]
	v_and_or_b32 v14, 0x1ff, v15, v14
	v_cndmask_b32_e64 v4, 0, 1, vcc_lo
	v_cmp_ne_u32_e32 vcc_lo, 0, v12
	v_cvt_f32_f16_e32 v51, v69
	v_cvt_f64_f32_e32 v[63:64], v63
	v_mul_f64 v[76:77], v[36:37], s[46:47]
	v_mul_f64 v[45:46], v[45:46], s[46:47]
	;; [unrolled: 1-line block ×3, first 2 shown]
	v_and_or_b32 v16, 0x1ff, v17, v16
	v_cndmask_b32_e64 v12, 0, 1, vcc_lo
	v_cmp_ne_u32_e32 vcc_lo, 0, v14
	v_cvt_f64_f32_e32 v[51:52], v51
	v_cvt_f32_f16_e32 v38, v38
	v_mul_f64 v[41:42], v[41:42], s[46:47]
	v_mul_f64 v[78:79], v[47:48], s[46:47]
	v_and_or_b32 v48, 0x1ff, v31, v30
	v_cndmask_b32_e64 v14, 0, 1, vcc_lo
	v_cmp_ne_u32_e32 vcc_lo, 0, v16
	v_cvt_f64_f32_e32 v[53:54], v54
	v_cvt_f64_f32_e32 v[55:56], v38
	;; [unrolled: 1-line block ×3, first 2 shown]
	v_mul_f64 v[43:44], v[43:44], s[46:47]
	v_mul_f64 v[86:87], v[61:62], s[46:47]
	v_mul_f64 v[82:83], v[57:58], s[46:47]
	v_lshrrev_b32_e32 v6, 8, v7
	v_bfe_u32 v95, v7, 20, 11
	v_and_or_b32 v58, 0x1ff, v73, v72
	v_cndmask_b32_e64 v16, 0, 1, vcc_lo
	v_cmp_ne_u32_e32 vcc_lo, 0, v48
	v_mul_f64 v[84:85], v[59:60], s[46:47]
	v_lshrrev_b32_e32 v93, 8, v5
	v_bfe_u32 v94, v5, 20, 11
	v_lshrrev_b32_e32 v47, 8, v13
	v_bfe_u32 v96, v13, 20, 11
	v_and_or_b32 v60, 0x1ff, v75, v74
	v_lshrrev_b32_e32 v38, 16, v5
	v_sub_nc_u32_e32 v5, 0x3f1, v95
	v_cndmask_b32_e64 v102, 0, 1, vcc_lo
	v_cmp_ne_u32_e32 vcc_lo, 0, v58
	v_and_or_b32 v48, 0xffe, v6, v4
	v_mul_f64 v[88:89], v[63:64], s[46:47]
	v_and_or_b32 v62, 0x1ff, v77, v76
	v_lshrrev_b32_e32 v63, 8, v77
	v_bfe_u32 v76, v77, 20, 11
	v_lshrrev_b32_e32 v37, 16, v7
	v_lshrrev_b32_e32 v30, 16, v77
	v_sub_nc_u32_e32 v7, 0x3f1, v96
	v_and_or_b32 v77, 0x1ff, v46, v45
	v_cndmask_b32_e64 v58, 0, 1, vcc_lo
	v_cmp_ne_u32_e32 vcc_lo, 0, v60
	v_and_or_b32 v107, 0x1ff, v50, v49
	v_med3_i32 v5, v5, 0, 13
	v_or_b32_e32 v45, 0x1000, v48
	v_and_or_b32 v49, 0xffe, v47, v12
	v_mul_f64 v[51:52], v[51:52], s[46:47]
	v_and_or_b32 v64, 0x1ff, v42, v41
	v_cndmask_b32_e64 v60, 0, 1, vcc_lo
	v_cmp_ne_u32_e32 vcc_lo, 0, v62
	v_lshrrev_b32_e32 v12, v5, v45
	v_med3_i32 v7, v7, 0, 13
	v_or_b32_e32 v47, 0x1000, v49
	v_mul_f64 v[53:54], v[53:54], s[46:47]
	v_mul_f64 v[67:68], v[2:3], s[46:47]
	;; [unrolled: 1-line block ×4, first 2 shown]
	v_lshrrev_b32_e32 v55, 8, v15
	v_bfe_u32 v97, v15, 20, 11
	v_lshrrev_b32_e32 v57, 8, v31
	v_bfe_u32 v99, v31, 20, 11
	;; [unrolled: 2-line block ×5, first 2 shown]
	v_lshrrev_b32_e32 v33, 16, v31
	v_lshrrev_b32_e32 v32, 16, v73
	;; [unrolled: 1-line block ×4, first 2 shown]
	v_and_or_b32 v72, 0x1ff, v44, v43
	v_lshrrev_b32_e32 v73, 8, v44
	v_bfe_u32 v75, v44, 20, 11
	v_cndmask_b32_e64 v62, 0, 1, vcc_lo
	v_cmp_ne_u32_e32 vcc_lo, 0, v64
	v_and_or_b32 v78, 0x1ff, v79, v78
	v_lshrrev_b32_e32 v105, 8, v79
	v_bfe_u32 v106, v79, 20, 11
	v_lshrrev_b32_e32 v42, 16, v44
	v_lshlrev_b32_e32 v5, v5, v12
	v_lshrrev_b32_e32 v44, 16, v79
	v_and_or_b32 v79, 0x1ff, v87, v86
	v_lshrrev_b32_e32 v86, v7, v47
	v_lshrrev_b32_e32 v36, 16, v13
	v_sub_nc_u32_e32 v13, 0x3f1, v97
	v_cndmask_b32_e64 v64, 0, 1, vcc_lo
	v_lshrrev_b32_e32 v108, 8, v50
	v_bfe_u32 v109, v50, 20, 11
	v_cmp_ne_u32_e32 vcc_lo, v5, v45
	v_lshrrev_b32_e32 v45, 16, v50
	v_and_or_b32 v50, 0xffe, v55, v14
	v_lshlrev_b32_e32 v7, v7, v86
	v_lshrrev_b32_e32 v56, 8, v17
	v_bfe_u32 v98, v17, 20, 11
	v_med3_i32 v13, v13, 0, 13
	v_lshrrev_b32_e32 v35, 16, v15
	v_cmp_ne_u32_e64 s0, v7, v47
	v_or_b32_e32 v7, 0x1000, v50
	v_sub_nc_u32_e32 v15, 0x3f1, v98
	v_lshrrev_b32_e32 v103, 8, v46
	v_bfe_u32 v104, v46, 20, 11
	v_and_or_b32 v51, 0x1ff, v52, v51
	v_lshrrev_b32_e32 v110, 8, v52
	v_bfe_u32 v111, v52, 20, 11
	v_lshrrev_b32_e32 v43, 16, v46
	v_lshrrev_b32_e32 v46, 16, v52
	v_and_or_b32 v52, 0xffe, v56, v16
	v_lshrrev_b32_e32 v121, v13, v7
	v_lshrrev_b32_e32 v34, 16, v17
	v_sub_nc_u32_e32 v17, 0x3f1, v99
	v_sub_nc_u32_e32 v66, 0x3f1, v100
	v_and_or_b32 v112, 0x1ff, v54, v53
	v_lshrrev_b32_e32 v113, 8, v54
	v_bfe_u32 v114, v54, 20, 11
	v_lshrrev_b32_e32 v47, 16, v54
	v_and_or_b32 v53, 0xffe, v57, v102
	v_med3_i32 v15, v15, 0, 13
	v_and_or_b32 v54, 0xffe, v59, v58
	v_lshlrev_b32_e32 v13, v13, v121
	v_or_b32_e32 v58, 0x1000, v52
	v_med3_i32 v17, v17, 0, 13
	v_and_or_b32 v55, 0xffe, v61, v60
	v_or_b32_e32 v59, 0x1000, v53
	v_cmp_ne_u32_e64 s1, v13, v7
	v_lshrrev_b32_e32 v13, v15, v58
	v_med3_i32 v7, v66, 0, 13
	v_or_b32_e32 v60, 0x1000, v54
	v_and_or_b32 v23, 0x1ff, v68, v67
	v_sub_nc_u32_e32 v67, 0x3f1, v74
	v_lshrrev_b32_e32 v122, v17, v59
	v_lshlrev_b32_e32 v15, v15, v13
	v_lshrrev_b32_e32 v123, v7, v60
	v_lshrrev_b32_e32 v90, 8, v68
	v_bfe_u32 v91, v68, 20, 11
	v_lshrrev_b32_e32 v41, 16, v68
	v_sub_nc_u32_e32 v68, 0x3f1, v76
	v_and_or_b32 v56, 0xffe, v63, v62
	v_med3_i32 v61, v67, 0, 13
	v_lshlrev_b32_e32 v17, v17, v122
	v_cmp_ne_u32_e64 s2, v15, v58
	v_or_b32_e32 v15, 0x1000, v55
	v_lshlrev_b32_e32 v7, v7, v123
	v_cmp_ne_u32_e64 s4, 0, v72
	v_med3_i32 v62, v68, 0, 13
	v_cmp_ne_u32_e64 s3, v17, v59
	v_lshrrev_b32_e32 v124, v61, v15
	v_cmp_ne_u32_e64 s5, 0, v77
	v_cndmask_b32_e64 v17, 0, 1, s4
	v_cmp_ne_u32_e64 s4, v7, v60
	v_or_b32_e32 v7, 0x1000, v56
	v_lshlrev_b32_e32 v58, v61, v124
	v_cmp_ne_u32_e64 s6, 0, v78
	v_sub_nc_u32_e32 v69, 0x3f1, v101
	v_and_or_b32 v57, 0xffe, v65, v64
	v_lshrrev_b32_e32 v77, v62, v7
	v_sub_nc_u32_e32 v59, 0x3f1, v75
	v_cndmask_b32_e64 v60, 0, 1, s5
	v_cmp_ne_u32_e64 s5, v58, v15
	v_cndmask_b32_e64 v15, 0, 1, s6
	v_and_or_b32 v58, 0xffe, v73, v17
	v_lshlrev_b32_e32 v17, v62, v77
	v_cmp_ne_u32_e64 s6, 0, v107
	v_med3_i32 v63, v69, 0, 13
	v_or_b32_e32 v62, 0x1000, v57
	v_med3_i32 v66, v59, 0, 13
	v_sub_nc_u32_e32 v61, 0x3f1, v104
	v_cndmask_b32_e64 v65, 0, 1, s6
	v_cmp_ne_u32_e64 s6, v17, v7
	v_or_b32_e32 v7, 0x1000, v58
	v_lshrrev_b32_e32 v78, v63, v62
	v_and_or_b32 v59, 0xffe, v103, v60
	v_sub_nc_u32_e32 v64, 0x3f1, v106
	v_and_or_b32 v60, 0xffe, v105, v15
	v_lshrrev_b32_e32 v103, v66, v7
	v_lshlrev_b32_e32 v15, v63, v78
	v_cmp_ne_u32_e64 s7, 0, v51
	v_med3_i32 v63, v61, 0, 13
	v_sub_nc_u32_e32 v17, 0x3f1, v109
	v_lshlrev_b32_e32 v61, v66, v103
	v_med3_i32 v64, v64, 0, 13
	v_cndmask_b32_e64 v51, 0, 1, s7
	v_cmp_ne_u32_e64 s7, v15, v62
	v_or_b32_e32 v15, 0x1000, v59
	v_cmp_ne_u32_e64 s8, v61, v7
	v_or_b32_e32 v7, 0x1000, v60
	v_and_or_b32 v61, 0xffe, v108, v65
	v_cmp_ne_u32_e64 s9, 0, v112
	v_lshrrev_b32_e32 v105, v63, v15
	v_med3_i32 v17, v17, 0, 13
	v_lshrrev_b32_e32 v107, v64, v7
	v_and_or_b32 v62, 0xffe, v110, v51
	v_or_b32_e32 v51, 0x1000, v61
	v_and_or_b32 v80, 0x1ff, v81, v80
	v_sub_nc_u32_e32 v66, 0x3f1, v111
	v_cndmask_b32_e64 v67, 0, 1, s9
	v_lshlrev_b32_e32 v63, v63, v105
	v_lshlrev_b32_e32 v64, v64, v107
	v_lshrrev_b32_e32 v108, v17, v51
	v_med3_i32 v65, v66, 0, 13
	v_cmp_ne_u32_e64 s11, 0, v80
	v_cmp_ne_u32_e64 s10, v63, v15
	v_or_b32_e32 v15, 0x1000, v62
	v_cmp_ne_u32_e64 s9, v64, v7
	v_sub_nc_u32_e32 v7, 0x3f1, v114
	v_lshlrev_b32_e32 v17, v17, v108
	v_and_or_b32 v63, 0xffe, v113, v67
	v_and_or_b32 v6, 0x1ff, v83, v82
	;; [unrolled: 1-line block ×3, first 2 shown]
	v_cndmask_b32_e64 v64, 0, 1, s11
	v_lshrrev_b32_e32 v80, v65, v15
	v_med3_i32 v7, v7, 0, 13
	v_cmp_ne_u32_e64 s11, v17, v51
	v_or_b32_e32 v17, 0x1000, v63
	v_lshrrev_b32_e32 v4, 8, v81
	v_bfe_u32 v115, v81, 20, 11
	v_lshlrev_b32_e32 v65, v65, v80
	v_cmp_ne_u32_e64 s12, 0, v6
	v_lshrrev_b32_e32 v110, v7, v17
	v_cmp_ne_u32_e64 s13, 0, v84
	v_lshrrev_b32_e32 v82, 8, v83
	v_bfe_u32 v116, v83, 20, 11
	v_and_or_b32 v14, 0x1ff, v89, v88
	v_sub_nc_u32_e32 v66, 0x3f1, v115
	v_cndmask_b32_e64 v6, 0, 1, s12
	v_cmp_ne_u32_e64 s12, v65, v15
	v_cndmask_b32_e64 v15, 0, 1, s13
	v_and_or_b32 v64, 0xffe, v4, v64
	v_lshlrev_b32_e32 v4, v7, v110
	v_cmp_ne_u32_e64 s13, 0, v79
	v_lshrrev_b32_e32 v5, 8, v87
	v_bfe_u32 v119, v87, 20, 11
	v_sub_nc_u32_e32 v51, 0x3f1, v116
	v_med3_i32 v66, v66, 0, 13
	v_cndmask_b32_e64 v7, 0, 1, s13
	v_cmp_ne_u32_e64 s13, v4, v17
	v_or_b32_e32 v4, 0x1000, v64
	v_cmp_ne_u32_e64 s14, 0, v14
	v_and_or_b32 v65, 0xffe, v82, v6
	v_lshrrev_b32_e32 v117, 8, v85
	v_bfe_u32 v118, v85, 20, 11
	v_and_or_b32 v2, 0x1ff, v3, v2
	v_lshrrev_b32_e32 v88, 8, v89
	v_sub_nc_u32_e32 v72, 0x3f1, v119
	v_cndmask_b32_e64 v14, 0, 1, s14
	v_lshrrev_b32_e32 v79, v66, v4
	v_med3_i32 v6, v51, 0, 13
	v_or_b32_e32 v51, 0x1000, v65
	v_and_or_b32 v69, 0xffe, v5, v7
	v_sub_nc_u32_e32 v67, 0x3f1, v118
	v_and_or_b32 v68, 0xffe, v117, v15
	v_bfe_u32 v120, v89, 20, 11
	v_cmp_ne_u32_e64 s14, 0, v2
	v_lshlrev_b32_e32 v15, v66, v79
	v_lshrrev_b32_e32 v82, v6, v51
	v_med3_i32 v7, v72, 0, 13
	v_and_or_b32 v66, 0xffe, v88, v14
	v_or_b32_e32 v14, 0x1000, v69
	v_med3_i32 v73, v67, 0, 13
	v_or_b32_e32 v5, 0x1000, v68
	v_lshrrev_b32_e32 v16, 8, v3
	v_bfe_u32 v102, v3, 20, 11
	v_sub_nc_u32_e32 v17, 0x3f1, v120
	v_cndmask_b32_e64 v2, 0, 1, s14
	v_lshlrev_b32_e32 v6, v6, v82
	v_lshrrev_b32_e32 v88, v7, v14
	v_lshrrev_b32_e32 v84, v73, v5
	v_cmp_ne_u32_e64 s14, v15, v4
	v_sub_nc_u32_e32 v4, 0x3f1, v102
	v_and_or_b32 v67, 0xffe, v16, v2
	v_med3_i32 v15, v17, 0, 13
	v_or_b32_e32 v16, 0x1000, v66
	v_cmp_ne_u32_e64 s16, v6, v51
	v_lshlrev_b32_e32 v6, v7, v88
	v_lshlrev_b32_e32 v2, v73, v84
	v_med3_i32 v17, v4, 0, 13
	v_or_b32_e32 v51, 0x1000, v67
	v_lshrrev_b32_e32 v112, v15, v16
	v_cmp_ne_u32_e64 s17, v6, v14
	v_add_co_u32 v6, s18, v20, s49
	v_cmp_ne_u32_e64 s15, v2, v5
	v_mul_f64 v[4:5], v[70:71], s[46:47]
	v_lshrrev_b32_e32 v2, 16, v81
	v_lshrrev_b32_e32 v81, v17, v51
	v_lshlrev_b32_e32 v15, v15, v112
	v_add_co_ci_u32_e64 v7, s18, s51, v21, s18
	v_add_co_u32 v14, s19, v6, s48
	v_lshlrev_b32_e32 v17, v17, v81
	v_cmp_ne_u32_e64 s18, v15, v16
	v_add_co_ci_u32_e64 v15, s19, s50, v7, s19
	v_add_co_u32 v16, s20, v14, s49
	v_cmp_ne_u32_e64 s19, v17, v51
	v_add_co_ci_u32_e64 v17, s20, s51, v15, s20
	v_cmp_ne_u32_e64 s20, 0, v23
	v_lshrrev_b32_e32 v70, 16, v83
	v_sub_nc_u32_e32 v83, 0x3f1, v91
	v_lshrrev_b32_e32 v72, 16, v87
	v_lshrrev_b32_e32 v71, 16, v85
	v_cndmask_b32_e64 v23, 0, 1, s20
	v_and_or_b32 v4, 0x1ff, v5, v4
	v_cmp_ne_u32_e64 s20, 0, v92
	v_lshrrev_b32_e32 v51, 8, v5
	v_sub_nc_u32_e32 v85, 0x3f1, v94
	v_and_or_b32 v90, 0xffe, v90, v23
	v_med3_i32 v23, v83, 0, 13
	v_cndmask_b32_e64 v87, 0, 1, s20
	v_cmp_ne_u32_e64 s20, 0, v4
	v_med3_i32 v85, v85, 0, 13
	v_or_b32_e32 v83, 0x1000, v90
	v_lshrrev_b32_e32 v73, 16, v89
	v_and_or_b32 v87, 0xffe, v93, v87
	v_cndmask_b32_e64 v4, 0, 1, s20
	v_add_nc_u32_e32 v89, 0xfffffc10, v91
	v_lshrrev_b32_e32 v93, v23, v83
	v_add_nc_u32_e32 v113, 0xfffffc10, v118
	v_cndmask_b32_e64 v118, 0, 1, s6
	v_and_or_b32 v4, 0xffe, v51, v4
	v_or_b32_e32 v51, 0x1000, v87
	v_lshlrev_b32_e32 v23, v23, v93
	v_add_nc_u32_e32 v91, 0xfffffc10, v94
	v_add_nc_u32_e32 v92, 0xfffffc10, v95
	;; [unrolled: 1-line block ×4, first 2 shown]
	v_cmp_ne_u32_e64 s20, v23, v83
	v_lshrrev_b32_e32 v23, v85, v51
	v_add_nc_u32_e32 v83, 0xfffffc10, v111
	v_add_nc_u32_e32 v111, 0xfffffc10, v116
	;; [unrolled: 1-line block ×3, first 2 shown]
	v_cndmask_b32_e64 v116, 0, 1, s20
	v_lshlrev_b32_e32 v85, v85, v23
	v_add_nc_u32_e32 v97, 0xfffffc10, v99
	v_add_nc_u32_e32 v98, 0xfffffc10, v100
	;; [unrolled: 1-line block ×4, first 2 shown]
	v_cmp_ne_u32_e64 s20, v85, v51
	v_add_nc_u32_e32 v101, 0xfffffc10, v106
	v_add_nc_u32_e32 v104, 0xfffffc10, v109
	;; [unrolled: 1-line block ×6, first 2 shown]
	v_cndmask_b32_e64 v85, 0, 1, s20
	v_add_nc_u32_e32 v51, 0xfffffc10, v102
	v_cndmask_b32_e64 v102, 0, 1, vcc_lo
	v_or_b32_e32 v93, v93, v116
	v_cndmask_b32_e64 v119, 0, 1, s7
	v_cndmask_b32_e64 v120, 0, 1, s8
	v_or_b32_e32 v77, v77, v118
	v_lshl_or_b32 v118, v89, 12, v90
	v_cmp_gt_i32_e32 vcc_lo, 1, v89
	v_or_b32_e32 v23, v23, v85
	v_or_b32_e32 v78, v78, v119
	v_cndmask_b32_e64 v119, 0, 1, s10
	v_or_b32_e32 v103, v103, v120
	v_lshl_or_b32 v120, v91, 12, v87
	v_cndmask_b32_e32 v93, v118, v93, vcc_lo
	v_cmp_gt_i32_e32 vcc_lo, 1, v91
	v_cndmask_b32_e64 v116, 0, 1, s0
	v_or_b32_e32 v12, v12, v102
	v_cndmask_b32_e64 v118, 0, 1, s9
	v_or_b32_e32 v105, v105, v119
	v_lshl_or_b32 v119, v92, 12, v48
	v_cndmask_b32_e32 v120, v120, v23, vcc_lo
	v_cmp_gt_i32_e32 vcc_lo, 1, v92
	v_cndmask_b32_e64 v85, 0, 1, s1
	;; [unrolled: 7-line block ×4, first 2 shown]
	v_or_b32_e32 v13, v13, v102
	v_or_b32_e32 v12, v80, v12
	v_lshl_or_b32 v80, v96, 12, v52
	v_cndmask_b32_e32 v85, v108, v85, vcc_lo
	v_cmp_gt_i32_e32 vcc_lo, 1, v96
	v_cndmask_b32_e64 v117, 0, 1, s4
	v_or_b32_e32 v116, v122, v116
	v_cndmask_b32_e64 v118, 0, 1, s13
	v_lshl_or_b32 v108, v97, 12, v53
	v_cndmask_b32_e32 v80, v80, v13, vcc_lo
	v_cmp_gt_i32_e32 vcc_lo, 1, v97
	v_add_nc_u32_e32 v74, 0xfffffc10, v74
	v_cndmask_b32_e64 v102, 0, 1, s5
	v_or_b32_e32 v117, v123, v117
	v_or_b32_e32 v110, v110, v118
	v_cndmask_b32_e64 v118, 0, 1, s14
	v_cndmask_b32_e64 v13, 0, 1, s16
	v_cndmask_b32_e32 v108, v108, v116, vcc_lo
	v_lshl_or_b32 v116, v98, 12, v54
	v_cmp_gt_i32_e32 vcc_lo, 1, v98
	v_add_nc_u32_e32 v76, 0xfffffc10, v76
	v_or_b32_e32 v102, v124, v102
	v_or_b32_e32 v79, v79, v118
	v_cndmask_b32_e64 v118, 0, 1, s15
	v_or_b32_e32 v13, v82, v13
	v_lshl_or_b32 v82, v74, 12, v55
	v_cndmask_b32_e32 v116, v116, v117, vcc_lo
	v_cmp_gt_i32_e32 vcc_lo, 1, v74
	v_cndmask_b32_e64 v117, 0, 1, s17
	v_or_b32_e32 v84, v84, v118
	v_lshl_or_b32 v118, v76, 12, v56
	v_add_nc_u32_e32 v75, 0xfffffc10, v75
	v_cndmask_b32_e32 v82, v82, v102, vcc_lo
	v_cmp_gt_i32_e32 vcc_lo, 1, v76
	v_cndmask_b32_e64 v102, 0, 1, s18
	v_or_b32_e32 v88, v88, v117
	v_lshl_or_b32 v117, v99, 12, v57
	v_cmp_ne_u32_e64 s44, 0, v90
	v_cndmask_b32_e32 v77, v118, v77, vcc_lo
	v_cmp_gt_i32_e32 vcc_lo, 1, v99
	v_or_b32_e32 v102, v112, v102
	v_lshl_or_b32 v112, v75, 12, v58
	v_cndmask_b32_e64 v118, 0, 1, s19
	v_cvt_f32_f16_e32 v22, v22
	v_cndmask_b32_e32 v78, v117, v78, vcc_lo
	v_cmp_gt_i32_e32 vcc_lo, 1, v75
	v_lshl_or_b32 v117, v100, 12, v59
	v_or_b32_e32 v81, v81, v118
	v_lshl_or_b32 v118, v101, 12, v60
	v_cndmask_b32_e32 v103, v112, v103, vcc_lo
	v_cmp_gt_i32_e32 vcc_lo, 1, v100
	v_lshl_or_b32 v112, v104, 12, v61
	v_cndmask_b32_e32 v105, v117, v105, vcc_lo
	v_cmp_gt_i32_e32 vcc_lo, 1, v101
	;; [unrolled: 3-line block ×8, first 2 shown]
	v_lshl_or_b32 v12, v115, 12, v66
	v_lshl_or_b32 v13, v51, 12, v67
	v_cndmask_b32_e32 v84, v118, v84, vcc_lo
	v_cmp_gt_i32_e32 vcc_lo, 1, v114
	v_bfe_u32 v118, v5, 20, 11
	v_lshrrev_b32_e32 v5, 16, v5
	v_cndmask_b32_e32 v88, v23, v88, vcc_lo
	v_cmp_gt_i32_e32 vcc_lo, 1, v115
	v_and_b32_e32 v23, 7, v93
	v_sub_nc_u32_e32 v90, 0x3f1, v118
	v_cndmask_b32_e32 v102, v12, v102, vcc_lo
	v_cmp_gt_i32_e32 vcc_lo, 1, v51
	v_and_b32_e32 v12, 7, v120
	v_cmp_lt_i32_e64 s17, 5, v23
	v_cmp_eq_u32_e64 s18, 3, v23
	v_and_b32_e32 v23, 7, v86
	v_cndmask_b32_e32 v81, v13, v81, vcc_lo
	v_and_b32_e32 v13, 7, v119
	v_cmp_lt_i32_e64 s19, 5, v12
	v_cmp_eq_u32_e64 s20, 3, v12
	v_and_b32_e32 v12, 7, v85
	s_or_b32 s17, s18, s17
	v_cmp_lt_i32_e64 s21, 5, v13
	v_cmp_eq_u32_e64 s22, 3, v13
	v_and_b32_e32 v13, 7, v80
	v_cmp_lt_i32_e64 s25, 5, v12
	v_cmp_eq_u32_e64 s26, 3, v12
	v_and_b32_e32 v12, 7, v116
	v_cmp_gt_i32_e64 s18, 31, v91
	v_cmp_lt_i32_e64 s27, 5, v13
	v_cmp_eq_u32_e64 s28, 3, v13
	v_and_b32_e32 v13, 7, v82
	v_cmp_lt_i32_e64 s31, 5, v12
	v_cmp_eq_u32_e64 s33, 3, v12
	v_and_b32_e32 v12, 7, v78
	v_cmp_lt_i32_e64 s23, 5, v23
	v_cmp_lt_i32_e64 s34, 5, v13
	v_cmp_eq_u32_e64 s35, 3, v13
	v_and_b32_e32 v13, 7, v103
	v_cmp_lt_i32_e64 s38, 5, v12
	v_cmp_eq_u32_e64 s39, 3, v12
	v_and_b32_e32 v12, 7, v105
	v_cmp_eq_u32_e64 s24, 3, v23
	v_cmp_lt_i32_e32 vcc_lo, 5, v13
	v_cmp_eq_u32_e64 s0, 3, v13
	v_and_b32_e32 v13, 7, v112
	v_cmp_lt_i32_e64 s1, 5, v12
	v_cmp_eq_u32_e64 s2, 3, v12
	v_and_b32_e32 v12, 7, v117
	v_and_b32_e32 v23, 7, v108
	v_cmp_lt_i32_e64 s5, 5, v13
	v_cmp_eq_u32_e64 s6, 3, v13
	v_and_b32_e32 v13, 7, v79
	v_cmp_lt_i32_e64 s7, 5, v12
	v_cmp_eq_u32_e64 s8, 3, v12
	v_and_b32_e32 v12, 7, v121
	v_cmp_lt_i32_e64 s29, 5, v23
	v_cmp_lt_i32_e64 s11, 5, v13
	v_cmp_eq_u32_e64 s12, 3, v13
	v_and_b32_e32 v13, 7, v88
	v_cmp_lt_i32_e64 s13, 5, v12
	v_cmp_eq_u32_e64 s14, 3, v12
	v_and_b32_e32 v12, 7, v102
	v_cmp_eq_u32_e64 s30, 3, v23
	v_cmp_lt_i32_e64 s40, 5, v13
	v_cmp_eq_u32_e64 s41, 3, v13
	v_cndmask_b32_e64 v13, 0, 1, s44
	v_cmp_lt_i32_e64 s42, 5, v12
	v_cmp_eq_u32_e64 s43, 3, v12
	v_and_b32_e32 v12, 7, v81
	v_cmp_ne_u32_e64 s44, 0, v87
	v_lshl_or_b32 v122, v13, 9, 0x7c00
	v_lshrrev_b32_e32 v13, 2, v120
	v_and_b32_e32 v23, 7, v77
	v_cmp_eq_u32_e64 s45, 3, v12
	v_cndmask_b32_e64 v87, 0, 1, s44
	v_cmp_lt_i32_e64 s44, 5, v12
	v_lshrrev_b32_e32 v12, 2, v93
	v_cmp_lt_i32_e64 s36, 5, v23
	v_cmp_eq_u32_e64 s37, 3, v23
	v_and_b32_e32 v23, 7, v107
	v_lshrrev_b32_e32 v103, 2, v103
	v_add_co_ci_u32_e64 v12, s17, 0, v12, s17
	s_or_b32 s17, s20, s19
	v_lshrrev_b32_e32 v105, 2, v105
	v_add_co_ci_u32_e64 v13, s17, 0, v13, s17
	v_cmp_gt_i32_e64 s17, 31, v89
	s_or_b32 vcc_lo, s0, vcc_lo
	v_cmp_lt_i32_e64 s3, 5, v23
	v_cmp_eq_u32_e64 s4, 3, v23
	v_lshrrev_b32_e32 v119, 2, v119
	v_cndmask_b32_e64 v93, 0x7c00, v12, s17
	v_cmp_eq_u32_e64 s17, 0x40f, v89
	v_cndmask_b32_e64 v89, 0x7c00, v13, s18
	v_cmp_eq_u32_e64 s18, 0x40f, v91
	v_add_co_ci_u32_e32 v103, vcc_lo, 0, v103, vcc_lo
	v_cndmask_b32_e64 v91, v93, v122, s17
	v_cmp_ne_u32_e64 s17, 0, v48
	v_lshrrev_b32_e32 v107, 2, v107
	s_or_b32 vcc_lo, s2, s1
	v_lshrrev_b32_e32 v86, 2, v86
	v_and_b32_e32 v23, 7, v110
	v_cndmask_b32_e64 v48, 0, 1, s17
	v_cmp_ne_u32_e64 s17, 0, v49
	v_add_co_ci_u32_e32 v105, vcc_lo, 0, v105, vcc_lo
	v_lshrrev_b32_e32 v112, 2, v112
	s_or_b32 vcc_lo, s4, s3
	v_cndmask_b32_e64 v49, 0, 1, s17
	v_cmp_ne_u32_e64 s17, 0, v50
	v_lshrrev_b32_e32 v85, 2, v85
	v_add_co_ci_u32_e32 v107, vcc_lo, 0, v107, vcc_lo
	v_lshrrev_b32_e32 v117, 2, v117
	v_cndmask_b32_e64 v50, 0, 1, s17
	v_cmp_ne_u32_e64 s17, 0, v52
	s_or_b32 vcc_lo, s6, s5
	v_cmp_lt_i32_e64 s9, 5, v23
	v_cmp_eq_u32_e64 s10, 3, v23
	v_lshrrev_b32_e32 v80, 2, v80
	v_cndmask_b32_e64 v52, 0, 1, s17
	v_cmp_ne_u32_e64 s17, 0, v53
	v_add_co_ci_u32_e32 v112, vcc_lo, 0, v112, vcc_lo
	v_lshrrev_b32_e32 v110, 2, v110
	s_or_b32 vcc_lo, s8, s7
	v_cndmask_b32_e64 v53, 0, 1, s17
	v_cmp_ne_u32_e64 s17, 0, v54
	v_lshrrev_b32_e32 v108, 2, v108
	v_and_b32_e32 v23, 7, v84
	v_add_co_ci_u32_e32 v117, vcc_lo, 0, v117, vcc_lo
	v_cndmask_b32_e64 v54, 0, 1, s17
	v_cmp_ne_u32_e64 s17, 0, v55
	v_lshrrev_b32_e32 v79, 2, v79
	s_or_b32 vcc_lo, s10, s9
	v_lshrrev_b32_e32 v116, 2, v116
	v_add_co_ci_u32_e32 v110, vcc_lo, 0, v110, vcc_lo
	v_cndmask_b32_e64 v55, 0, 1, s17
	v_cmp_ne_u32_e64 s17, 0, v56
	v_lshrrev_b32_e32 v120, 2, v121
	s_or_b32 vcc_lo, s12, s11
	v_cmp_lt_i32_e64 s15, 5, v23
	v_cmp_eq_u32_e64 s16, 3, v23
	v_cndmask_b32_e64 v56, 0, 1, s17
	v_cmp_ne_u32_e64 s17, 0, v57
	v_lshrrev_b32_e32 v82, 2, v82
	v_add_co_ci_u32_e32 v79, vcc_lo, 0, v79, vcc_lo
	v_lshrrev_b32_e32 v84, 2, v84
	v_cndmask_b32_e64 v57, 0, 1, s17
	v_cmp_ne_u32_e64 s17, 0, v58
	s_or_b32 vcc_lo, s14, s13
	v_lshrrev_b32_e32 v77, 2, v77
	v_add_co_ci_u32_e32 v120, vcc_lo, 0, v120, vcc_lo
	v_cndmask_b32_e64 v58, 0, 1, s17
	v_cmp_ne_u32_e64 s17, 0, v59
	v_lshrrev_b32_e32 v88, 2, v88
	s_or_b32 vcc_lo, s16, s15
	v_lshrrev_b32_e32 v78, 2, v78
	v_add_co_ci_u32_e32 v84, vcc_lo, 0, v84, vcc_lo
	v_cndmask_b32_e64 v59, 0, 1, s17
	v_cmp_ne_u32_e64 s17, 0, v60
	v_lshrrev_b32_e32 v102, 2, v102
	s_or_b32 vcc_lo, s41, s40
	v_lshrrev_b32_e32 v81, 2, v81
	v_add_co_ci_u32_e32 v88, vcc_lo, 0, v88, vcc_lo
	v_cndmask_b32_e64 v60, 0, 1, s17
	v_cmp_ne_u32_e64 s17, 0, v61
	s_or_b32 vcc_lo, s43, s42
	v_lshl_or_b32 v48, v48, 9, 0x7c00
	v_add_co_ci_u32_e32 v102, vcc_lo, 0, v102, vcc_lo
	v_cndmask_b32_e64 v61, 0, 1, s17
	v_cmp_ne_u32_e64 s17, 0, v62
	s_or_b32 vcc_lo, s45, s44
	v_lshl_or_b32 v49, v49, 9, 0x7c00
	v_add_co_ci_u32_e32 v81, vcc_lo, 0, v81, vcc_lo
	v_cndmask_b32_e64 v62, 0, 1, s17
	v_cmp_ne_u32_e64 s17, 0, v63
	v_cmp_eq_u32_e32 vcc_lo, 0x40f, v92
	v_lshl_or_b32 v50, v50, 9, 0x7c00
	v_lshl_or_b32 v52, v52, 9, 0x7c00
	;; [unrolled: 1-line block ×3, first 2 shown]
	v_cndmask_b32_e64 v63, 0, 1, s17
	v_cmp_ne_u32_e64 s17, 0, v64
	v_lshl_or_b32 v54, v54, 9, 0x7c00
	v_lshl_or_b32 v55, v55, 9, 0x7c00
	;; [unrolled: 1-line block ×4, first 2 shown]
	v_cndmask_b32_e64 v64, 0, 1, s17
	v_cmp_ne_u32_e64 s17, 0, v65
	v_lshl_or_b32 v58, v58, 9, 0x7c00
	v_lshl_or_b32 v59, v59, 9, 0x7c00
	;; [unrolled: 1-line block ×4, first 2 shown]
	v_cndmask_b32_e64 v65, 0, 1, s17
	v_cmp_ne_u32_e64 s17, 0, v68
	v_cvt_f64_f32_e32 v[22:23], v22
	v_lshl_or_b32 v62, v62, 9, 0x7c00
	v_lshl_or_b32 v63, v63, 9, 0x7c00
	;; [unrolled: 1-line block ×3, first 2 shown]
	v_cndmask_b32_e64 v68, 0, 1, s17
	v_cmp_ne_u32_e64 s17, 0, v69
	v_lshl_or_b32 v65, v65, 9, 0x7c00
	v_lshl_or_b32 v87, v87, 9, 0x7c00
	v_med3_i32 v90, v90, 0, 13
	v_or_b32_e32 v93, 0x1000, v4
	v_cndmask_b32_e64 v69, 0, 1, s17
	v_cmp_ne_u32_e64 s17, 0, v66
	v_lshl_or_b32 v68, v68, 9, 0x7c00
	v_cndmask_b32_e64 v87, v89, v87, s18
	v_lshrrev_b32_e32 v89, v90, v93
	v_lshl_or_b32 v69, v69, 9, 0x7c00
	v_cndmask_b32_e64 v66, 0, 1, s17
	v_cmp_ne_u32_e64 s17, 0, v67
	v_and_or_b32 v41, 0x8000, v41, v91
	v_lshlrev_b32_e32 v90, v90, v89
	v_and_or_b32 v38, 0x8000, v38, v87
	v_lshl_or_b32 v66, v66, 9, 0x7c00
	v_cndmask_b32_e64 v67, 0, 1, s17
	s_or_b32 s17, s22, s21
	v_mul_f64 v[22:23], v[22:23], s[46:47]
	v_add_co_ci_u32_e64 v119, s17, 0, v119, s17
	s_or_b32 s17, s24, s23
	v_add_co_u32 v12, s19, v16, s48
	v_add_co_ci_u32_e64 v86, s17, 0, v86, s17
	s_or_b32 s17, s26, s25
	v_add_co_ci_u32_e64 v13, s19, s50, v17, s19
	v_add_co_ci_u32_e64 v85, s17, 0, v85, s17
	s_or_b32 s17, s28, s27
	v_add_co_ci_u32_e64 v80, s17, 0, v80, s17
	s_or_b32 s17, s30, s29
	;; [unrolled: 2-line block ×6, first 2 shown]
	v_add_co_ci_u32_e64 v78, s17, 0, v78, s17
	v_cmp_gt_i32_e64 s17, 31, v92
	v_cndmask_b32_e64 v119, 0x7c00, v119, s17
	v_cmp_gt_i32_e64 s17, 31, v94
	v_cndmask_b32_e32 v48, v119, v48, vcc_lo
	v_cndmask_b32_e64 v86, 0x7c00, v86, s17
	v_cmp_gt_i32_e64 s17, 31, v95
	v_cmp_eq_u32_e32 vcc_lo, 0x40f, v94
	v_and_or_b32 v37, 0x8000, v37, v48
	v_cndmask_b32_e64 v85, 0x7c00, v85, s17
	v_cmp_gt_i32_e64 s17, 31, v96
	v_cndmask_b32_e32 v49, v86, v49, vcc_lo
	v_cmp_eq_u32_e32 vcc_lo, 0x40f, v95
	v_cndmask_b32_e64 v80, 0x7c00, v80, s17
	v_cmp_gt_i32_e64 s17, 31, v97
	v_cndmask_b32_e32 v50, v85, v50, vcc_lo
	v_cmp_eq_u32_e32 vcc_lo, 0x40f, v96
	v_and_or_b32 v36, 0x8000, v36, v49
	v_cndmask_b32_e64 v108, 0x7c00, v108, s17
	v_cmp_gt_i32_e64 s17, 31, v98
	v_cndmask_b32_e32 v52, v80, v52, vcc_lo
	v_cmp_eq_u32_e32 vcc_lo, 0x40f, v97
	v_and_or_b32 v35, 0x8000, v35, v50
	v_cndmask_b32_e64 v116, 0x7c00, v116, s17
	v_cmp_gt_i32_e64 s17, 31, v74
	v_cndmask_b32_e32 v53, v108, v53, vcc_lo
	v_cmp_eq_u32_e32 vcc_lo, 0x40f, v98
	v_and_or_b32 v34, 0x8000, v34, v52
	v_cndmask_b32_e64 v82, 0x7c00, v82, s17
	v_cmp_gt_i32_e64 s17, 31, v76
	v_cndmask_b32_e32 v54, v116, v54, vcc_lo
	v_cmp_eq_u32_e32 vcc_lo, 0x40f, v74
	v_and_or_b32 v33, 0x8000, v33, v53
	v_cndmask_b32_e64 v77, 0x7c00, v77, s17
	v_cmp_gt_i32_e64 s17, 31, v99
	v_cndmask_b32_e32 v55, v82, v55, vcc_lo
	v_cmp_eq_u32_e32 vcc_lo, 0x40f, v76
	v_and_or_b32 v32, 0x8000, v32, v54
	v_cndmask_b32_e64 v78, 0x7c00, v78, s17
	v_and_or_b32 v31, 0x8000, v31, v55
	v_cndmask_b32_e32 v56, v77, v56, vcc_lo
	v_cmp_eq_u32_e32 vcc_lo, 0x40f, v99
	v_and_or_b32 v30, 0x8000, v30, v56
	v_cndmask_b32_e32 v57, v78, v57, vcc_lo
	v_cmp_gt_i32_e32 vcc_lo, 31, v75
	v_and_or_b32 v18, 0x8000, v18, v57
	v_cndmask_b32_e32 v74, 0x7c00, v103, vcc_lo
	v_cmp_gt_i32_e32 vcc_lo, 31, v100
	v_cndmask_b32_e32 v76, 0x7c00, v105, vcc_lo
	v_cmp_gt_i32_e32 vcc_lo, 31, v101
	;; [unrolled: 2-line block ×10, first 2 shown]
	v_cndmask_b32_e32 v88, 0x7c00, v102, vcc_lo
	v_cmp_eq_u32_e32 vcc_lo, 0x40f, v75
	v_cndmask_b32_e32 v58, v74, v58, vcc_lo
	v_cmp_eq_u32_e32 vcc_lo, 0x40f, v100
	v_and_or_b32 v42, 0x8000, v42, v58
	v_cndmask_b32_e32 v59, v76, v59, vcc_lo
	v_cmp_eq_u32_e32 vcc_lo, 0x40f, v101
	v_and_b32_e32 v42, 0xffff, v42
	v_and_or_b32 v43, 0x8000, v43, v59
	v_cndmask_b32_e32 v60, v77, v60, vcc_lo
	v_cmp_eq_u32_e32 vcc_lo, 0x40f, v104
	v_lshl_or_b32 v41, v41, 16, v42
	v_and_b32_e32 v43, 0xffff, v43
	v_and_or_b32 v44, 0x8000, v44, v60
	v_cndmask_b32_e32 v48, v78, v61, vcc_lo
	v_cmp_eq_u32_e32 vcc_lo, 0x40f, v83
	v_lshl_or_b32 v38, v38, 16, v43
	;; [unrolled: 5-line block ×7, first 2 shown]
	v_and_b32_e32 v48, 0xffff, v48
	v_and_or_b32 v49, 0x8000, v71, v54
	v_cndmask_b32_e32 v55, v86, v69, vcc_lo
	v_cmp_eq_u32_e32 vcc_lo, 0x40f, v115
	global_store_dword v[25:26], v41, off
	global_store_dword v[27:28], v38, off
	;; [unrolled: 1-line block ×7, first 2 shown]
	v_and_or_b32 v2, 0x1ff, v23, v22
	v_and_b32_e32 v49, 0xffff, v49
	v_fma_f16 v0, v40, v24, -v29
	v_cndmask_b32_e32 v56, v88, v66, vcc_lo
	v_cmp_ne_u32_e32 vcc_lo, v90, v93
	v_lshl_or_b32 v32, v32, 16, v48
	v_lshl_or_b32 v31, v31, 16, v49
	v_add_nc_u32_e32 v11, 0xfffffc10, v118
	v_cvt_f32_f16_e32 v0, v0
	v_cndmask_b32_e64 v6, 0, 1, vcc_lo
	v_cmp_gt_i32_e32 vcc_lo, 31, v51
	global_store_dword v[14:15], v32, off
	global_store_dword v[16:17], v31, off
	v_lshrrev_b32_e32 v9, 8, v23
	v_bfe_u32 v14, v23, 20, 11
	v_and_or_b32 v52, 0x8000, v73, v56
	v_cndmask_b32_e32 v7, 0x7c00, v81, vcc_lo
	v_cmp_ne_u32_e32 vcc_lo, 0, v2
	v_or_b32_e32 v6, v89, v6
	v_lshl_or_b32 v15, v11, 12, v4
	v_cvt_f64_f32_e32 v[0:1], v0
	v_lshrrev_b32_e32 v8, 16, v19
	v_cndmask_b32_e64 v2, 0, 1, vcc_lo
	v_cmp_gt_i32_e32 vcc_lo, 1, v11
	v_and_b32_e32 v52, 0xffff, v52
	v_and_or_b32 v50, 0x8000, v72, v55
	v_mul_f16_sdwa v16, v39, v8 dst_sel:DWORD dst_unused:UNUSED_PAD src0_sel:WORD_1 src1_sel:DWORD
	v_and_or_b32 v17, 0xffe, v9, v2
	v_sub_nc_u32_e32 v2, 0x3f1, v14
	v_cndmask_b32_e32 v9, v15, v6, vcc_lo
	v_lshl_or_b32 v10, v18, 16, v52
	v_lshl_or_b32 v6, v67, 9, 0x7c00
	v_or_b32_e32 v15, 0x1000, v17
	v_med3_i32 v2, v2, 0, 13
	v_and_b32_e32 v18, 7, v9
	v_cmp_eq_u32_e32 vcc_lo, 0x40f, v51
	v_fmac_f16_e32 v16, v39, v19
	v_add_nc_u32_e32 v14, 0xfffffc10, v14
	v_lshrrev_b32_e32 v21, v2, v15
	v_cmp_eq_u32_e64 s0, 3, v18
	v_cndmask_b32_e32 v20, v7, v6, vcc_lo
	v_cmp_lt_i32_e32 vcc_lo, 5, v18
	v_cvt_f32_f16_e32 v16, v16
	v_lshrrev_b32_e32 v18, 16, v3
	v_lshrrev_b32_e32 v3, 2, v9
	v_lshlrev_b32_e32 v2, v2, v21
	s_or_b32 vcc_lo, s0, vcc_lo
	v_cvt_f64_f32_e32 v[6:7], v16
	v_mul_f64 v[0:1], v[0:1], s[46:47]
	v_add_co_ci_u32_e32 v9, vcc_lo, 0, v3, vcc_lo
	v_cmp_ne_u32_e32 vcc_lo, v2, v15
	v_mul_f16_sdwa v16, v39, v19 dst_sel:DWORD dst_unused:UNUSED_PAD src0_sel:WORD_1 src1_sel:DWORD
	v_and_or_b32 v18, 0x8000, v18, v20
	v_and_b32_e32 v50, 0xffff, v50
	v_cndmask_b32_e64 v2, 0, 1, vcc_lo
	v_cmp_ne_u32_e32 vcc_lo, 0, v4
	v_fma_f16 v8, v39, v8, -v16
	v_lshl_or_b32 v16, v14, 12, v17
	v_and_b32_e32 v18, 0xffff, v18
	v_or_b32_e32 v15, v21, v2
	v_cndmask_b32_e64 v4, 0, 1, vcc_lo
	v_cmp_gt_i32_e32 vcc_lo, 31, v11
	v_cvt_f32_f16_e32 v3, v8
	v_lshl_or_b32 v30, v30, 16, v50
	v_lshl_or_b32 v4, v4, 9, 0x7c00
	v_cndmask_b32_e32 v19, 0x7c00, v9, vcc_lo
	v_add_co_u32 v8, vcc_lo, v12, s49
	v_add_co_ci_u32_e32 v9, vcc_lo, s51, v13, vcc_lo
	v_cmp_gt_i32_e32 vcc_lo, 1, v14
	v_cvt_f64_f32_e32 v[2:3], v3
	v_mul_f64 v[6:7], v[6:7], s[46:47]
	v_and_or_b32 v0, 0x1ff, v1, v0
	v_cndmask_b32_e32 v15, v16, v15, vcc_lo
	v_cmp_eq_u32_e32 vcc_lo, 0x40f, v11
	v_lshrrev_b32_e32 v11, 8, v1
	v_bfe_u32 v16, v1, 20, 11
	v_lshrrev_b32_e32 v1, 16, v1
	v_cndmask_b32_e32 v4, v19, v4, vcc_lo
	v_cmp_ne_u32_e32 vcc_lo, 0, v0
	v_and_b32_e32 v19, 7, v15
	v_lshrrev_b32_e32 v15, 2, v15
	v_and_or_b32 v4, 0x8000, v5, v4
	v_cndmask_b32_e64 v0, 0, 1, vcc_lo
	v_cmp_lt_i32_e32 vcc_lo, 5, v19
	v_cmp_eq_u32_e64 s0, 3, v19
	v_and_or_b32 v0, 0xffe, v11, v0
	v_sub_nc_u32_e32 v11, 0x3f1, v16
	v_mul_f64 v[2:3], v[2:3], s[46:47]
	v_and_or_b32 v6, 0x1ff, v7, v6
	s_or_b32 vcc_lo, s0, vcc_lo
	v_or_b32_e32 v5, 0x1000, v0
	v_med3_i32 v11, v11, 0, 13
	v_add_co_ci_u32_e32 v15, vcc_lo, 0, v15, vcc_lo
	v_cmp_ne_u32_e32 vcc_lo, 0, v6
	v_lshrrev_b32_e32 v20, 8, v7
	v_lshrrev_b32_e32 v19, v11, v5
	v_bfe_u32 v21, v7, 20, 11
	v_lshrrev_b32_e32 v7, 16, v7
	v_cndmask_b32_e64 v6, 0, 1, vcc_lo
	v_cmp_ne_u32_e32 vcc_lo, 0, v17
	v_lshlrev_b32_e32 v11, v11, v19
	v_and_or_b32 v6, 0xffe, v20, v6
	v_cndmask_b32_e64 v17, 0, 1, vcc_lo
	v_cmp_ne_u32_e32 vcc_lo, v11, v5
	v_sub_nc_u32_e32 v20, 0x3f1, v21
	v_add_nc_u32_e32 v11, 0xfffffc10, v16
	v_and_or_b32 v2, 0x1ff, v3, v2
	v_or_b32_e32 v16, 0x1000, v6
	v_cndmask_b32_e64 v5, 0, 1, vcc_lo
	v_cmp_gt_i32_e32 vcc_lo, 31, v14
	v_med3_i32 v20, v20, 0, 13
	v_lshrrev_b32_e32 v22, 8, v3
	v_bfe_u32 v24, v3, 20, 11
	v_or_b32_e32 v5, v19, v5
	v_cndmask_b32_e32 v15, 0x7c00, v15, vcc_lo
	v_cmp_ne_u32_e32 vcc_lo, 0, v2
	v_lshl_or_b32 v19, v11, 12, v0
	v_lshrrev_b32_e32 v25, v20, v16
	v_lshl_or_b32 v17, v17, 9, 0x7c00
	v_lshrrev_b32_e32 v3, 16, v3
	v_cndmask_b32_e64 v2, 0, 1, vcc_lo
	v_cmp_gt_i32_e32 vcc_lo, 1, v11
	v_and_or_b32 v2, 0xffe, v22, v2
	v_sub_nc_u32_e32 v22, 0x3f1, v24
	v_cndmask_b32_e32 v5, v19, v5, vcc_lo
	v_lshlrev_b32_e32 v19, v20, v25
	v_cmp_eq_u32_e32 vcc_lo, 0x40f, v14
	v_or_b32_e32 v20, 0x1000, v2
	v_med3_i32 v22, v22, 0, 13
	v_and_b32_e32 v26, 7, v5
	v_lshrrev_b32_e32 v5, 2, v5
	v_cndmask_b32_e32 v14, v15, v17, vcc_lo
	v_cmp_ne_u32_e32 vcc_lo, v19, v16
	v_add_nc_u32_e32 v16, 0xfffffc10, v21
	v_lshrrev_b32_e32 v17, v22, v20
	v_cmp_eq_u32_e64 s0, 3, v26
	v_cndmask_b32_e64 v15, 0, 1, vcc_lo
	v_lshl_or_b32 v19, v16, 12, v6
	v_lshlrev_b32_e32 v21, v22, v17
	v_cmp_gt_i32_e64 s1, 1, v16
	v_cmp_lt_i32_e32 vcc_lo, 5, v26
	v_or_b32_e32 v15, v25, v15
	v_lshrrev_b32_e32 v22, 16, v23
	s_or_b32 vcc_lo, s0, vcc_lo
	v_cndmask_b32_e64 v15, v19, v15, s1
	v_cmp_ne_u32_e64 s1, v21, v20
	v_add_nc_u32_e32 v20, 0xfffffc10, v24
	v_add_co_ci_u32_e32 v5, vcc_lo, 0, v5, vcc_lo
	v_and_b32_e32 v21, 7, v15
	v_cndmask_b32_e64 v19, 0, 1, s1
	v_cmp_ne_u32_e32 vcc_lo, 0, v0
	v_cmp_gt_i32_e64 s0, 1, v20
	v_lshrrev_b32_e32 v15, 2, v15
	v_cmp_gt_i32_e64 s1, 31, v11
	v_or_b32_e32 v17, v17, v19
	v_lshl_or_b32 v19, v20, 12, v2
	v_cndmask_b32_e64 v0, 0, 1, vcc_lo
	v_cmp_lt_i32_e32 vcc_lo, 5, v21
	v_cndmask_b32_e64 v5, 0x7c00, v5, s1
	v_cmp_eq_u32_e64 s1, 0x40f, v11
	v_cndmask_b32_e64 v17, v19, v17, s0
	v_cmp_eq_u32_e64 s0, 3, v21
	v_lshl_or_b32 v0, v0, 9, 0x7c00
	v_and_or_b32 v14, 0x8000, v22, v14
	v_and_b32_e32 v19, 7, v17
	s_or_b32 vcc_lo, s0, vcc_lo
	v_cndmask_b32_e64 v0, v5, v0, s1
	v_add_co_ci_u32_e32 v15, vcc_lo, 0, v15, vcc_lo
	v_cmp_ne_u32_e32 vcc_lo, 0, v6
	v_cmp_eq_u32_e64 s0, 3, v19
	v_lshrrev_b32_e32 v5, 2, v17
	v_cmp_gt_i32_e64 s1, 31, v16
	v_and_b32_e32 v14, 0xffff, v14
	v_cndmask_b32_e64 v6, 0, 1, vcc_lo
	v_cmp_lt_i32_e32 vcc_lo, 5, v19
	v_cndmask_b32_e64 v11, 0x7c00, v15, s1
	v_lshl_or_b32 v6, v6, 9, 0x7c00
	s_or_b32 vcc_lo, s0, vcc_lo
	v_add_co_ci_u32_e32 v5, vcc_lo, 0, v5, vcc_lo
	v_cmp_ne_u32_e32 vcc_lo, 0, v2
	v_cndmask_b32_e64 v2, 0, 1, vcc_lo
	v_cmp_eq_u32_e32 vcc_lo, 0x40f, v16
	v_lshl_or_b32 v2, v2, 9, 0x7c00
	v_cndmask_b32_e32 v6, v11, v6, vcc_lo
	v_cmp_gt_i32_e32 vcc_lo, 31, v20
	v_lshl_or_b32 v11, v4, 16, v18
	v_and_or_b32 v4, 0x8000, v1, v0
	v_and_or_b32 v6, 0x8000, v7, v6
	v_cndmask_b32_e32 v5, 0x7c00, v5, vcc_lo
	v_cmp_eq_u32_e32 vcc_lo, 0x40f, v20
	v_lshl_or_b32 v7, v4, 16, v14
	v_cndmask_b32_e32 v2, v5, v2, vcc_lo
	v_add_co_u32 v0, vcc_lo, v8, s48
	v_add_co_ci_u32_e32 v1, vcc_lo, s50, v9, vcc_lo
	v_and_or_b32 v4, 0x8000, v3, v2
	v_and_b32_e32 v5, 0xffff, v6
	v_add_co_u32 v2, vcc_lo, v0, s49
	v_add_co_ci_u32_e32 v3, vcc_lo, s51, v1, vcc_lo
	v_lshl_or_b32 v6, v4, 16, v5
	v_add_co_u32 v4, vcc_lo, v2, s48
	v_add_co_ci_u32_e32 v5, vcc_lo, s50, v3, vcc_lo
	global_store_dword v[12:13], v30, off
	global_store_dword v[8:9], v10, off
	;; [unrolled: 1-line block ×5, first 2 shown]
.LBB0_2:
	s_endpgm
	.section	.rodata,"a",@progbits
	.p2align	6, 0x0
	.amdhsa_kernel bluestein_single_fwd_len784_dim1_half_op_CI_CI
		.amdhsa_group_segment_fixed_size 3136
		.amdhsa_private_segment_fixed_size 0
		.amdhsa_kernarg_size 104
		.amdhsa_user_sgpr_count 6
		.amdhsa_user_sgpr_private_segment_buffer 1
		.amdhsa_user_sgpr_dispatch_ptr 0
		.amdhsa_user_sgpr_queue_ptr 0
		.amdhsa_user_sgpr_kernarg_segment_ptr 1
		.amdhsa_user_sgpr_dispatch_id 0
		.amdhsa_user_sgpr_flat_scratch_init 0
		.amdhsa_user_sgpr_private_segment_size 0
		.amdhsa_wavefront_size32 1
		.amdhsa_uses_dynamic_stack 0
		.amdhsa_system_sgpr_private_segment_wavefront_offset 0
		.amdhsa_system_sgpr_workgroup_id_x 1
		.amdhsa_system_sgpr_workgroup_id_y 0
		.amdhsa_system_sgpr_workgroup_id_z 0
		.amdhsa_system_sgpr_workgroup_info 0
		.amdhsa_system_vgpr_workitem_id 0
		.amdhsa_next_free_vgpr 125
		.amdhsa_next_free_sgpr 52
		.amdhsa_reserve_vcc 1
		.amdhsa_reserve_flat_scratch 0
		.amdhsa_float_round_mode_32 0
		.amdhsa_float_round_mode_16_64 0
		.amdhsa_float_denorm_mode_32 3
		.amdhsa_float_denorm_mode_16_64 3
		.amdhsa_dx10_clamp 1
		.amdhsa_ieee_mode 1
		.amdhsa_fp16_overflow 0
		.amdhsa_workgroup_processor_mode 1
		.amdhsa_memory_ordered 1
		.amdhsa_forward_progress 0
		.amdhsa_shared_vgpr_count 0
		.amdhsa_exception_fp_ieee_invalid_op 0
		.amdhsa_exception_fp_denorm_src 0
		.amdhsa_exception_fp_ieee_div_zero 0
		.amdhsa_exception_fp_ieee_overflow 0
		.amdhsa_exception_fp_ieee_underflow 0
		.amdhsa_exception_fp_ieee_inexact 0
		.amdhsa_exception_int_div_zero 0
	.end_amdhsa_kernel
	.text
.Lfunc_end0:
	.size	bluestein_single_fwd_len784_dim1_half_op_CI_CI, .Lfunc_end0-bluestein_single_fwd_len784_dim1_half_op_CI_CI
                                        ; -- End function
	.section	.AMDGPU.csdata,"",@progbits
; Kernel info:
; codeLenInByte = 22080
; NumSgprs: 54
; NumVgprs: 125
; ScratchSize: 0
; MemoryBound: 0
; FloatMode: 240
; IeeeMode: 1
; LDSByteSize: 3136 bytes/workgroup (compile time only)
; SGPRBlocks: 6
; VGPRBlocks: 15
; NumSGPRsForWavesPerEU: 54
; NumVGPRsForWavesPerEU: 125
; Occupancy: 8
; WaveLimiterHint : 1
; COMPUTE_PGM_RSRC2:SCRATCH_EN: 0
; COMPUTE_PGM_RSRC2:USER_SGPR: 6
; COMPUTE_PGM_RSRC2:TRAP_HANDLER: 0
; COMPUTE_PGM_RSRC2:TGID_X_EN: 1
; COMPUTE_PGM_RSRC2:TGID_Y_EN: 0
; COMPUTE_PGM_RSRC2:TGID_Z_EN: 0
; COMPUTE_PGM_RSRC2:TIDIG_COMP_CNT: 0
	.text
	.p2alignl 6, 3214868480
	.fill 48, 4, 3214868480
	.type	__hip_cuid_f9b401387afafbee,@object ; @__hip_cuid_f9b401387afafbee
	.section	.bss,"aw",@nobits
	.globl	__hip_cuid_f9b401387afafbee
__hip_cuid_f9b401387afafbee:
	.byte	0                               ; 0x0
	.size	__hip_cuid_f9b401387afafbee, 1

	.ident	"AMD clang version 19.0.0git (https://github.com/RadeonOpenCompute/llvm-project roc-6.4.0 25133 c7fe45cf4b819c5991fe208aaa96edf142730f1d)"
	.section	".note.GNU-stack","",@progbits
	.addrsig
	.addrsig_sym __hip_cuid_f9b401387afafbee
	.amdgpu_metadata
---
amdhsa.kernels:
  - .args:
      - .actual_access:  read_only
        .address_space:  global
        .offset:         0
        .size:           8
        .value_kind:     global_buffer
      - .actual_access:  read_only
        .address_space:  global
        .offset:         8
        .size:           8
        .value_kind:     global_buffer
      - .actual_access:  read_only
        .address_space:  global
        .offset:         16
        .size:           8
        .value_kind:     global_buffer
      - .actual_access:  read_only
        .address_space:  global
        .offset:         24
        .size:           8
        .value_kind:     global_buffer
      - .actual_access:  read_only
        .address_space:  global
        .offset:         32
        .size:           8
        .value_kind:     global_buffer
      - .offset:         40
        .size:           8
        .value_kind:     by_value
      - .address_space:  global
        .offset:         48
        .size:           8
        .value_kind:     global_buffer
      - .address_space:  global
        .offset:         56
        .size:           8
        .value_kind:     global_buffer
      - .address_space:  global
        .offset:         64
        .size:           8
        .value_kind:     global_buffer
      - .address_space:  global
        .offset:         72
        .size:           8
        .value_kind:     global_buffer
      - .offset:         80
        .size:           4
        .value_kind:     by_value
      - .address_space:  global
        .offset:         88
        .size:           8
        .value_kind:     global_buffer
      - .address_space:  global
        .offset:         96
        .size:           8
        .value_kind:     global_buffer
    .group_segment_fixed_size: 3136
    .kernarg_segment_align: 8
    .kernarg_segment_size: 104
    .language:       OpenCL C
    .language_version:
      - 2
      - 0
    .max_flat_workgroup_size: 56
    .name:           bluestein_single_fwd_len784_dim1_half_op_CI_CI
    .private_segment_fixed_size: 0
    .sgpr_count:     54
    .sgpr_spill_count: 0
    .symbol:         bluestein_single_fwd_len784_dim1_half_op_CI_CI.kd
    .uniform_work_group_size: 1
    .uses_dynamic_stack: false
    .vgpr_count:     125
    .vgpr_spill_count: 0
    .wavefront_size: 32
    .workgroup_processor_mode: 1
amdhsa.target:   amdgcn-amd-amdhsa--gfx1030
amdhsa.version:
  - 1
  - 2
...

	.end_amdgpu_metadata
